;; amdgpu-corpus repo=ROCm/aiter kind=harvested arch=n/a opt=n/a

/root/src/amdgpu-assembly/repos/ROCm__aiter/hsa/gfx942/fmoe_2stages/fmoe_stage1_bf16_pertokenFp8_blockscale_g1u1_16x128_4tg_pf2.co:	file format elf64-amdgpu

Disassembly of section .text:

0000000000002a00 <_ZN5aiter59fmoe_stage1_bf16_pertokenFp8_blockscale_g1u1_16x128_4tg_pf2E>:
	s_and_b32 s1, s1, 0xffff                                   // 000000002A00: 8601FF01 0000FFFF
	s_load_dwordx2 s[8:9], s[0:1], 0x0                         // 000000002A08: C0060200 00000000
	s_load_dwordx2 s[20:21], s[0:1], 0x10                      // 000000002A10: C0060500 00000010
	s_load_dwordx2 s[24:25], s[0:1], 0x20                      // 000000002A18: C0060600 00000020
	s_load_dwordx2 s[48:49], s[0:1], 0x30                      // 000000002A20: C0060C00 00000030
	s_load_dwordx2 s[28:29], s[0:1], 0x40                      // 000000002A28: C0060700 00000040
	s_load_dwordx2 s[32:33], s[0:1], 0x50                      // 000000002A30: C0060800 00000050
	s_load_dwordx2 s[36:37], s[0:1], 0x60                      // 000000002A38: C0060900 00000060
	s_load_dwordx2 s[12:13], s[0:1], 0x70                      // 000000002A40: C0060300 00000070
	s_load_dwordx2 s[44:45], s[0:1], 0x80                      // 000000002A48: C0060B00 00000080
	s_mov_b32 s89, 0                                           // 000000002A50: BED90080
	s_load_dword s64, s[0:1], 0x90                             // 000000002A54: C0021000 00000090
	s_load_dword s65, s[0:1], 0xa0                             // 000000002A5C: C0021040 000000A0
	s_load_dword s66, s[0:1], 0xb0                             // 000000002A64: C0021080 000000B0
	s_load_dword s67, s[0:1], 0xc0                             // 000000002A6C: C00210C0 000000C0
	s_load_dword s68, s[0:1], 0xd0                             // 000000002A74: C0021100 000000D0
	s_load_dword s69, s[0:1], 0xe0                             // 000000002A7C: C0021140 000000E0
	s_load_dword s71, s[0:1], 0xf0                             // 000000002A84: C00211C0 000000F0
	s_load_dword s72, s[0:1], 0x100                            // 000000002A8C: C0021200 00000100
	s_load_dword s74, s[0:1], 0x110                            // 000000002A94: C0021280 00000110
	s_load_dword s76, s[0:1], 0x120                            // 000000002A9C: C0021300 00000120
	s_load_dword s56, s[0:1], 0x130                            // 000000002AA4: C0020E00 00000130
	s_load_dword s88, s[0:1], 0x140                            // 000000002AAC: C0021600 00000140
	s_load_dword s89, s[0:1], 0x150                            // 000000002AB4: C0021640 00000150
	v_lshrrev_b32_e32 v1, 10, v0                               // 000000002ABC: 2002008A
	v_lshrrev_b32_e32 v2, 10, v1                               // 000000002AC0: 2004028A
	v_and_b32_e32 v2, 0x3ff, v2                                // 000000002AC4: 260404FF 000003FF
	v_and_b32_e32 v1, 0x3ff, v1                                // 000000002ACC: 260202FF 000003FF
	v_and_b32_e32 v0, 0x3ff, v0                                // 000000002AD4: 260000FF 000003FF
	v_lshrrev_b32_e32 v3, 6, v0                                // 000000002ADC: 20060086
	v_and_b32_e32 v0, 63, v0                                   // 000000002AE0: 260000BF
	s_mov_b32 s2, s2                                           // 000000002AE4: BE820002
	s_mov_b32 s3, s3                                           // 000000002AE8: BE830003
	s_mov_b32 s4, s4                                           // 000000002AEC: BE840004
	v_readfirstlane_b32 s7, v3                                 // 000000002AF0: 7E0E0503
	s_waitcnt lgkmcnt(0)                                       // 000000002AF4: BF8CC07F
	s_and_b32 s49, s49, 0xffff                                 // 000000002AF8: 8631FF31 0000FFFF
	s_load_dword s48, s[48:49], 0x0                            // 000000002B00: C0020C18 00000000
	s_and_b32 s45, s45, 0xffff                                 // 000000002B08: 862DFF2D 0000FFFF
	s_and_b32 s9, s9, 0xffff                                   // 000000002B10: 8609FF09 0000FFFF
	s_mul_i32 s60, s66, s68                                    // 000000002B18: 923C4442
	s_mul_i32 s61, s66, 4                                      // 000000002B1C: 923D8442
	s_mov_b32 s22, s60                                         // 000000002B20: BE96003C
	s_mov_b32 s26, -16                                         // 000000002B24: BE9A00D0
	s_mov_b32 s30, s61                                         // 000000002B28: BE9E003D
	s_mov_b32 s14, 64                                          // 000000002B2C: BE8E00C0
	s_mov_b32 s38, -16                                         // 000000002B30: BEA600D0
	s_mov_b32 s10, -16                                         // 000000002B34: BE8A00D0
	s_lshr_b32 s60, s64, 7                                     // 000000002B38: 8F3C8740
	s_mul_i32 s61, s60, 4                                      // 000000002B3C: 923D843C
	s_lshr_b32 s60, s65, 7                                     // 000000002B40: 8F3C8741
	s_add_u32 s60, s60, 1                                      // 000000002B44: 803C813C
	s_mul_i32 s60, s60, s61                                    // 000000002B48: 923C3D3C
	s_mov_b32 s34, s60                                         // 000000002B4C: BEA2003C
	s_mov_b32 s23, 0x20000                                     // 000000002B50: BE9700FF 00020000
	s_mov_b32 s27, 0x20000                                     // 000000002B58: BE9B00FF 00020000
	s_mov_b32 s31, 0x20000                                     // 000000002B60: BE9F00FF 00020000
	s_mov_b32 s35, 0x20000                                     // 000000002B68: BEA300FF 00020000
	s_mov_b32 s15, 0x20000                                     // 000000002B70: BE8F00FF 00020000
	s_mov_b32 s39, 0x20000                                     // 000000002B78: BEA700FF 00020000
	s_mov_b32 s11, 0x20000                                     // 000000002B80: BE8B00FF 00020000
	s_and_b32 s21, s21, 0xffff                                 // 000000002B88: 8615FF15 0000FFFF
	s_and_b32 s25, s25, 0xffff                                 // 000000002B90: 8619FF19 0000FFFF
	s_and_b32 s29, s29, 0xffff                                 // 000000002B98: 861DFF1D 0000FFFF
	s_and_b32 s33, s33, 0xffff                                 // 000000002BA0: 8621FF21 0000FFFF
	s_and_b32 s13, s13, 0xffff                                 // 000000002BA8: 860DFF0D 0000FFFF
	s_and_b32 s37, s37, 0xffff                                 // 000000002BB0: 8625FF25 0000FFFF
	s_or_b32 s21, s21, 0x40000                                 // 000000002BB8: 8715FF15 00040000
	s_or_b32 s25, s25, 0x40000                                 // 000000002BC0: 8719FF19 00040000
	s_or_b32 s29, s29, 0x40000                                 // 000000002BC8: 871DFF1D 00040000
	s_or_b32 s33, s33, 0x40000                                 // 000000002BD0: 8721FF21 00040000
	s_or_b32 s13, s13, 0x40000                                 // 000000002BD8: 870DFF0D 00040000
	s_or_b32 s37, s37, 0x40000                                 // 000000002BE0: 8725FF25 00040000
	v_accvgpr_write_b32 a47, 0                                 // 000000002BE8: D3D9402F 18000080
	v_mov_b32_e32 v51, 0                                       // 000000002BF0: 7E660280
	s_waitcnt lgkmcnt(0)                                       // 000000002BF4: BF8CC07F
	s_mul_i32 s60, s3, 16                                      // 000000002BF8: 923C9003
	s_cmp_lt_i32 s60, s48                                      // 000000002BFC: BF04303C
	s_cbranch_scc0 label_0925                                  // 000000002C00: BF8408A1
	s_mov_b32 s80, 0                                           // 000000002C04: BED00080
	s_lshr_b32 s81, s64, s88                                   // 000000002C08: 8F515840
	s_mul_i32 s60, s3, 4                                       // 000000002C0C: 923C8403
	s_add_u32 s44, s60, s44                                    // 000000002C10: 802C2C3C
	s_addc_u32 s45, 0, s45                                     // 000000002C14: 822D2D80
	s_load_dword s5, s[44:45], 0x0                             // 000000002C18: C0020156 00000000
	s_mul_i32 s60, s3, 16                                      // 000000002C20: 923C9003
	s_mul_i32 s60, 4, s60                                      // 000000002C24: 923C3C84
	s_add_u32 s12, s60, s12                                    // 000000002C28: 800C0C3C
	s_addc_u32 s13, 0, s13                                     // 000000002C2C: 820D0D80
	v_and_b32_e32 v4, 15, v0                                   // 000000002C30: 2608008F
	v_lshlrev_b32_e32 v4, 2, v4                                // 000000002C34: 24080882
	buffer_load_dword v28, v4, s[12:15], 0 offen               // 000000002C38: E0501000 80031C04
	v_add_u32_e32 v4, 64, v4                                   // 000000002C40: 680808C0
	s_mul_i32 s60, 4, s7                                       // 000000002C44: 923C0784
	v_lshlrev_b32_e32 v4, 4, v0                                // 000000002C48: 24080084
	v_add_u32_e32 v4, s60, v4                                  // 000000002C4C: 6808083C
	buffer_load_dword v3, v4, s[12:15], 0 offen                // 000000002C50: E0501000 80030304
	v_mov_b32_e32 v36, 0                                       // 000000002C58: 7E480280
	v_mov_b32_e32 v44, 0                                       // 000000002C5C: 7E580280
	v_mov_b32_e32 v37, 0                                       // 000000002C60: 7E4A0280
	v_mov_b32_e32 v45, 0                                       // 000000002C64: 7E5A0280
	v_mov_b32_e32 v38, 0                                       // 000000002C68: 7E4C0280
	v_mov_b32_e32 v46, 0                                       // 000000002C6C: 7E5C0280
	v_mov_b32_e32 v39, 0                                       // 000000002C70: 7E4E0280
	v_mov_b32_e32 v47, 0                                       // 000000002C74: 7E5E0280
	v_mov_b32_e32 v40, 0                                       // 000000002C78: 7E500280
	v_mov_b32_e32 v48, 0                                       // 000000002C7C: 7E600280
	v_mov_b32_e32 v41, 0                                       // 000000002C80: 7E520280
	v_mov_b32_e32 v49, 0                                       // 000000002C84: 7E620280
	v_mov_b32_e32 v42, 0                                       // 000000002C88: 7E540280
	v_mov_b32_e32 v50, 0                                       // 000000002C8C: 7E640280
	v_mov_b32_e32 v43, 0                                       // 000000002C90: 7E560280
	v_mov_b32_e32 v51, 0                                       // 000000002C94: 7E660280
	s_mul_i32 s60, s2, 0x80                                    // 000000002C98: 923CFF02 00000080
	s_cmp_eq_u32 s88, 0                                        // 000000002CA0: BF068058
	s_cselect_b32 s61, 1, 4                                    // 000000002CA4: 853D8481
	s_mul_i32 s60, s60, s61                                    // 000000002CA8: 923C3D3C
	s_mov_b32 s90, s8                                          // 000000002CAC: BEDA0008
	s_mov_b32 s91, s9                                          // 000000002CB0: BEDB0009
	s_add_u32 s8, s60, s8                                      // 000000002CB4: 8008083C
	s_addc_u32 s9, 0, s9                                       // 000000002CB8: 82090980
	v_lshrrev_b32_e32 v4, 4, v0                                // 000000002CBC: 20080084
	v_mul_lo_u32 v20, 34, v4                                   // 000000002CC0: D2850014 000208A2
	v_and_b32_e32 v4, 15, v0                                   // 000000002CC8: 2608008F
	v_mul_lo_u32 v5, 2, v4                                     // 000000002CCC: D2850005 00020882
	v_add_u32_e32 v20, v5, v20                                 // 000000002CD4: 68282905
	s_mul_i32 s60, s7, 0x88                                    // 000000002CD8: 923CFF07 00000088
	v_add_u32_e32 v20, s60, v20                                // 000000002CE0: 6828283C
	v_lshlrev_b32_e32 v20, 2, v20                              // 000000002CE4: 24282882
	v_and_b32_e32 v4, 31, v0                                   // 000000002CE8: 2608009F
	v_lshrrev_b32_e32 v4, 1, v4                                // 000000002CEC: 20080881
	v_mul_lo_u32 v21, 34, v4                                   // 000000002CF0: D2850015 000208A2
	v_lshrrev_b32_e32 v4, 5, v0                                // 000000002CF8: 20080085
	v_mul_lo_u32 v4, 8, v4                                     // 000000002CFC: D2850004 00020888
	v_add_u32_e32 v21, v21, v4                                 // 000000002D04: 682A0915
	v_and_b32_e32 v5, 1, v0                                    // 000000002D08: 260A0081
	v_add_u32_e32 v21, v5, v21                                 // 000000002D0C: 682A2B05
	s_mul_i32 s60, s7, 2                                       // 000000002D10: 923C8207
	v_add_u32_e32 v21, s60, v21                                // 000000002D14: 682A2A3C
	v_lshlrev_b32_e32 v21, 2, v21                              // 000000002D18: 242A2A82
	s_mul_i32 s60, s7, 0x220                                   // 000000002D1C: 923CFF07 00000220
	s_add_u32 s48, 0, s60                                      // 000000002D24: 80303C80
	s_add_u32 s49, 0x880, s48                                  // 000000002D28: 803130FF 00000880
	v_lshrrev_b32_e32 v4, 4, v0                                // 000000002D30: 20080084
	v_lshlrev_b32_e32 v5, 2, v4                                // 000000002D34: 240A0882
	v_and_b32_e32 v4, 15, v0                                   // 000000002D38: 2608008F
	v_lshrrev_b32_e32 v6, 2, v4                                // 000000002D3C: 200C0882
	v_lshlrev_b32_e32 v6, 5, v6                                // 000000002D40: 240C0C85
	v_add_u32_e32 v5, v6, v5                                   // 000000002D44: 680A0B06
	v_and_b32_e32 v4, 3, v0                                    // 000000002D48: 26080083
	v_mul_u32_u24_e32 v6, 0x88, v4                             // 000000002D4C: 100C08FF 00000088
	v_add_u32_e32 v5, v6, v5                                   // 000000002D54: 680A0B06
	v_lshlrev_b32_e32 v2, 2, v5                                // 000000002D58: 24040A82
	s_waitcnt lgkmcnt(0)                                       // 000000002D5C: BF8CC07F
	s_mul_i32 s60, s2, 0x80                                    // 000000002D60: 923CFF02 00000080
	s_mul_i32 s60, s60, s69                                    // 000000002D68: 923C453C
	s_mul_i32 s61, s5, s72                                     // 000000002D6C: 923D4805
	s_add_u32 s60, s61, s60                                    // 000000002D70: 803C3C3D
	s_add_u32 s24, s60, s24                                    // 000000002D74: 8018183C
	s_addc_u32 s25, 0, s25                                     // 000000002D78: 82191980
	s_lshr_b32 s60, s64, s88                                   // 000000002D7C: 8F3C5840
	s_mul_i32 s60, s4, s60                                     // 000000002D80: 923C3C04
	s_lshr_b32 s60, s60, 7                                     // 000000002D84: 8F3C873C
	s_mul_i32 s60, s60, 0x800                                  // 000000002D88: 923CFF3C 00000800
	s_add_u32 s24, s60, s24                                    // 000000002D90: 8018183C
	s_addc_u32 s25, 0, s25                                     // 000000002D94: 82191980
	s_lshr_b32 s60, s69, s88                                   // 000000002D98: 8F3C5845
	s_mul_i32 s60, s4, s60                                     // 000000002D9C: 923C3C04
	s_add_u32 s20, s60, s20                                    // 000000002DA0: 8014143C
	s_addc_u32 s21, 0, s21                                     // 000000002DA4: 82151580
	s_mul_i32 s60, s7, 16                                      // 000000002DA8: 923C9007
	s_mul_i32 s60, s60, s69                                    // 000000002DAC: 923C453C
	v_lshlrev_b32_e32 v34, 4, v0                               // 000000002DB0: 24440084
	v_add_u32_e32 v34, s60, v34                                // 000000002DB4: 6844443C
	s_mul_i32 s60, 64, s69                                     // 000000002DB8: 923C45C0
	v_add_u32_e32 v35, s60, v34                                // 000000002DBC: 6846443C
	s_mov_b32 s84, s24                                         // 000000002DC0: BED40018
	s_mov_b32 s85, s25                                         // 000000002DC4: BED50019
	s_mov_b32 s86, s26                                         // 000000002DC8: BED6001A
	s_mov_b32 s87, s27                                         // 000000002DCC: BED7001B
	s_mul_i32 s60, s69, s65                                    // 000000002DD0: 923C4145
	s_add_u32 s84, s60, s84                                    // 000000002DD4: 8054543C
	s_addc_u32 s85, 0, s85                                     // 000000002DD8: 82555580
	s_lshr_b32 s60, s64, 7                                     // 000000002DDC: 8F3C8740
	s_mul_i32 s61, s60, 4                                      // 000000002DE0: 923D843C
	v_and_b32_e32 v22, 15, v0                                  // 000000002DE4: 262C008F
	v_mul_lo_u32 v22, v22, s61                                 // 000000002DE8: D2850016 00007B16
	s_lshr_b32 s60, s65, 7                                     // 000000002DF0: 8F3C8741
	s_mul_i32 s60, s60, s61                                    // 000000002DF4: 923C3D3C
	v_add_u32_e64 v23, v22, s60                                // 000000002DF8: D1340017 00007916
	s_mul_i32 s60, s2, 1                                       // 000000002E00: 923C8102
	s_mul_i32 s60, s60, s61                                    // 000000002E04: 923C3D3C
	s_mul_i32 s61, s5, s74                                     // 000000002E08: 923D4A05
	s_add_u32 s61, s61, s60                                    // 000000002E0C: 803D3C3D
	s_add_u32 s32, s61, s32                                    // 000000002E10: 8020203D
	s_addc_u32 s33, 0, s33                                     // 000000002E14: 82212180
	s_lshr_b32 s60, s64, 7                                     // 000000002E18: 8F3C8740
	s_lshr_b32 s60, s60, s88                                   // 000000002E1C: 8F3C583C
	s_mul_i32 s60, s4, s60                                     // 000000002E20: 923C3C04
	s_mul_i32 s61, s60, 4                                      // 000000002E24: 923D843C
	s_add_u32 s32, s61, s32                                    // 000000002E28: 8020203D
	s_addc_u32 s33, 0, s33                                     // 000000002E2C: 82212180
	s_lshl_b32 s62, s66, 2                                     // 000000002E30: 8E3E8242
	s_mul_i32 s62, s60, s62                                    // 000000002E34: 923E3E3C
	s_add_u32 s28, s62, s28                                    // 000000002E38: 801C1C3E
	s_addc_u32 s29, 0, s29                                     // 000000002E3C: 821D1D80
	s_mov_b32 s4, 4                                            // 000000002E40: BE840084
	s_mov_b32 s57, 0x80                                        // 000000002E44: BEB900FF 00000080
	s_mov_b32 s58, 0x800                                       // 000000002E4C: BEBA00FF 00000800
	s_mov_b32 s83, s58                                         // 000000002E54: BED3003A
	s_mov_b32 s52, 0x7060302                                   // 000000002E58: BEB400FF 07060302
	s_mov_b32 s53, 0x400                                       // 000000002E60: BEB500FF 00000400
	s_mov_b32 s54, 0x40100                                     // 000000002E68: BEB600FF 00040100
	s_mov_b32 s55, 0x4020100                                   // 000000002E70: BEB700FF 04020100
	s_mov_b32 s6, 0x3fb8aa3b                                   // 000000002E78: BE8600FF 3FB8AA3B
	s_mov_b32 s78, 0xbd92220c                                  // 000000002E80: BECE00FF BD92220C
	s_mov_b32 s79, 0xbd92220c                                  // 000000002E88: BECF00FF BD92220C
	s_mov_b32 m0, s48                                          // 000000002E90: BEFC0030
	v_mov_b32_e32 v1, 0xbfcc4231                               // 000000002E94: 7E0202FF BFCC4231
	v_mov_b32_e32 v17, 0xffff0000                              // 000000002E9C: 7E2202FF FFFF0000
	v_mov_b32_e32 v18, 0x7fff0000                              // 000000002EA4: 7E2402FF 7FFF0000
	v_mov_b32_e32 v19, 0x7fff                                  // 000000002EAC: 7E2602FF 00007FFF
	s_waitcnt vmcnt(0) expcnt(0) lgkmcnt(0)                    // 000000002EB4: BF8C0000
	v_lshrrev_b32_e32 v4, 5, v0                                // 000000002EB8: 20080085
	v_xor_b32_e32 v5, 1, v4                                    // 000000002EBC: 2A0A0881
	v_readlane_b32 s82, v3, 0                                  // 000000002EC0: D2890052 00010103
	s_and_b32 s82, s82, 0xffffff                               // 000000002EC8: 8652FF52 00FFFFFF
	v_mul_lo_u32 v6, v5, s82                                   // 000000002ED0: D2850006 0000A505
	v_readlane_b32 s82, v3, 1                                  // 000000002ED8: D2890052 00010303
	s_and_b32 s82, s82, 0xffffff                               // 000000002EE0: 8652FF52 00FFFFFF
	v_mul_lo_u32 v7, v4, s82                                   // 000000002EE8: D2850007 0000A504
	v_add_u32_e32 v32, v6, v7                                  // 000000002EF0: 68400F06
	v_mul_lo_u32 v32, v32, s68                                 // 000000002EF4: D2850020 00008920
	v_readlane_b32 s82, v3, 2                                  // 000000002EFC: D2890052 00010503
	s_and_b32 s82, s82, 0xffffff                               // 000000002F04: 8652FF52 00FFFFFF
	v_mul_lo_u32 v6, v5, s82                                   // 000000002F0C: D2850006 0000A505
	v_readlane_b32 s82, v3, 3                                  // 000000002F14: D2890052 00010703
	s_and_b32 s82, s82, 0xffffff                               // 000000002F1C: 8652FF52 00FFFFFF
	v_mul_lo_u32 v7, v4, s82                                   // 000000002F24: D2850007 0000A504
	v_add_u32_e32 v33, v6, v7                                  // 000000002F2C: 68420F06
	v_mul_lo_u32 v33, v33, s68                                 // 000000002F30: D2850021 00008921
	v_and_b32_e32 v4, 31, v0                                   // 000000002F38: 2608009F
	v_lshlrev_b32_e32 v4, 2, v4                                // 000000002F3C: 24080882
	v_add_u32_e32 v32, v32, v4                                 // 000000002F40: 68400920
	v_add_u32_e32 v33, v33, v4                                 // 000000002F44: 68420921
	v_and_b32_e32 v28, 0xffffff, v28                           // 000000002F48: 263838FF 00FFFFFF
	v_lshlrev_b32_e32 v28, 2, v28                              // 000000002F50: 24383882
	s_lshl_b32 s3, s66, 2                                      // 000000002F54: 8E038242
	buffer_load_dword v32, s[20:23], 0 offen lds               // 000000002F58: E0511000 80050020
	s_add_u32 m0, 0x100, s48                                   // 000000002F60: 807C30FF 00000100
	buffer_load_dword v33, s[20:23], 0 offen lds               // 000000002F68: E0511000 80050021
	s_add_u32 m0, 0, s49                                       // 000000002F70: 807C3180
	s_add_u32 s20, s57, s20                                    // 000000002F74: 80141439
	s_addc_u32 s21, 0, s21                                     // 000000002F78: 82151580
	buffer_load_dword v29, v28, s[28:31], 0 offen              // 000000002F7C: E0501000 80071D1C
	s_add_u32 s28, s3, s28                                     // 000000002F84: 801C1C03
	s_addc_u32 s29, 0, s29                                     // 000000002F88: 821D1D80
	buffer_load_dword v32, s[20:23], 0 offen lds               // 000000002F8C: E0511000 80050020
	s_add_u32 m0, 0x100, s49                                   // 000000002F94: 807C31FF 00000100
	buffer_load_dword v33, s[20:23], 0 offen lds               // 000000002F9C: E0511000 80050021
	s_add_u32 m0, 0, s48                                       // 000000002FA4: 807C3080
	s_add_u32 s20, s57, s20                                    // 000000002FA8: 80141439
	s_addc_u32 s21, 0, s21                                     // 000000002FAC: 82151580
	buffer_load_dword v30, v28, s[28:31], 0 offen              // 000000002FB0: E0501000 80071E1C
	s_add_u32 s28, s3, s28                                     // 000000002FB8: 801C1C03
	s_addc_u32 s29, 0, s29                                     // 000000002FBC: 821D1D80
	buffer_load_dword v24, v22, s[32:35], 0 offen              // 000000002FC0: E0501000 80081816
	buffer_load_dwordx4 a[16:19], v34, s[24:27], 0 offen       // 000000002FC8: E05C1000 80861022
	buffer_load_dwordx4 a[20:23], v34, s[24:27], 0 offen offset:1024// 000000002FD0: E05C1400 80861422
	buffer_load_dwordx4 a[24:27], v35, s[24:27], 0 offen       // 000000002FD8: E05C1000 80861823
	buffer_load_dwordx4 a[28:31], v35, s[24:27], 0 offen offset:1024// 000000002FE0: E05C1400 80861C23
	s_add_u32 s24, s58, s24                                    // 000000002FE8: 8018183A
	s_addc_u32 s25, 0, s25                                     // 000000002FEC: 82191980
	s_waitcnt vmcnt(9)                                         // 000000002FF0: BF8C0F79
	s_barrier                                                  // 000000002FF4: BF8A0000
	ds_read_b128 a[0:3], v2                                    // 000000002FF8: DBFE0000 00000002
	ds_read_b128 a[4:7], v2 offset:64                          // 000000003000: DBFE0040 04000002
	s_cmp_lt_i32 s7, 2                                         // 000000003008: BF048207
	s_cbranch_scc0 label_0556                                  // 00000000300C: BF8403CF

0000000000003010 <label_0184>:
	s_waitcnt vmcnt(2) lgkmcnt(0)                              // 000000003010: BF8C0072
	s_barrier                                                  // 000000003014: BF8A0000
	v_mov_b32_e32 v31, v29                                     // 000000003018: 7E3E031D
	v_mul_f32_dpp v4, v24, v31 row_newbcast:0 row_mask:0xf bank_mask:0xf// 00000000301C: 0A083EFA FF015018
	v_mfma_f32_16x16x32_fp8_fp8 v[8:11], a[16:17], a[0:1], 0   // 000000003024: D3F30008 1A020110
	buffer_load_dword v27, v23, s[32:35], 0 offen              // 00000000302C: E0501000 80081B17
	v_mfma_f32_16x16x32_fp8_fp8 v[8:11], a[18:19], a[2:3], v[8:11]// 000000003034: D3F30008 1C220512
	buffer_load_dwordx4 a[32:35], v34, s[84:87], 0 offen       // 00000000303C: E05C1000 80952022
	v_mfma_f32_16x16x32_fp8_fp8 v[8:11], a[20:21], a[4:5], v[8:11]// 000000003044: D3F30008 1C220914
	v_mfma_f32_16x16x32_fp8_fp8 v[8:11], a[22:23], a[6:7], v[8:11]// 00000000304C: D3F30008 1C220D16
	s_waitcnt vmcnt(2)                                         // 000000003054: BF8C0F72
	v_mul_f32_dpp v6, v24, v31 row_newbcast:0 row_mask:0xf bank_mask:0xf// 000000003058: 0A0C3EFA FF015018
	v_mfma_f32_16x16x32_fp8_fp8 v[12:15], a[24:25], a[0:1], 0  // 000000003060: D3F3000C 1A020118
	v_mfma_f32_16x16x32_fp8_fp8 v[12:15], a[26:27], a[2:3], v[12:15]// 000000003068: D3F3000C 1C32051A
	buffer_load_dwordx4 a[36:39], v34, s[84:87], 0 offen offset:1024// 000000003070: E05C1400 80952422
	s_add_u32 s60, 0x80, s80                                   // 000000003078: 803C50FF 00000080
	s_cmp_lt_u32 s60, s81                                      // 000000003080: BF0A513C
	s_cselect_b32 s83, s83, 0                                  // 000000003084: 85538053
	s_cselect_b32 s4, s4, 0                                    // 000000003088: 85048004
	v_mfma_f32_16x16x32_fp8_fp8 v[12:15], a[28:29], a[4:5], v[12:15]// 00000000308C: D3F3000C 1C32091C
	s_add_u32 s32, s4, s32                                     // 000000003094: 80202004
	s_addc_u32 s33, 0, s33                                     // 000000003098: 82212180
	v_mfma_f32_16x16x32_fp8_fp8 v[12:15], a[30:31], a[6:7], v[12:15]// 00000000309C: D3F3000C 1C320D1E
	v_fma_f32 v36, v8, v4, v36                                 // 0000000030A4: D1CB0024 04920908
	v_fma_f32 v37, v9, v4, v37                                 // 0000000030AC: D1CB0025 04960909
	v_fma_f32 v38, v10, v4, v38                                // 0000000030B4: D1CB0026 049A090A
	v_fma_f32 v39, v11, v4, v39                                // 0000000030BC: D1CB0027 049E090B
	v_fma_f32 v40, v12, v6, v40                                // 0000000030C4: D1CB0028 04A20D0C
	v_fma_f32 v41, v13, v6, v41                                // 0000000030CC: D1CB0029 04A60D0D
	v_fma_f32 v42, v14, v6, v42                                // 0000000030D4: D1CB002A 04AA0D0E
	v_fma_f32 v43, v15, v6, v43                                // 0000000030DC: D1CB002B 04AE0D0F
	buffer_load_dwordx4 a[40:43], v35, s[84:87], 0 offen       // 0000000030E4: E05C1000 80952823
	buffer_load_dwordx4 a[44:47], v35, s[84:87], 0 offen offset:1024// 0000000030EC: E05C1400 80952C23
	buffer_load_dword v32, s[20:23], 0 offen lds               // 0000000030F4: E0511000 80050020
	s_add_u32 m0, 0x100, s48                                   // 0000000030FC: 807C30FF 00000100
	buffer_load_dword v33, s[20:23], 0 offen lds               // 000000003104: E0511000 80050021
	s_add_u32 m0, 0, s49                                       // 00000000310C: 807C3180
	buffer_load_dword v29, v28, s[28:31], 0 offen              // 000000003110: E0501000 80071D1C
	s_waitcnt vmcnt(3)                                         // 000000003118: BF8C0F73
	v_mul_f32_dpp v4, v27, v31 row_newbcast:0 row_mask:0xf bank_mask:0xf// 00000000311C: 0A083EFA FF01501B
	v_mfma_f32_16x16x32_fp8_fp8 v[8:11], a[32:33], a[0:1], 0   // 000000003124: D3F30008 1A020120
	buffer_load_dword v24, v22, s[32:35], 0 offen              // 00000000312C: E0501000 80081816
	v_mfma_f32_16x16x32_fp8_fp8 v[8:11], a[34:35], a[2:3], v[8:11]// 000000003134: D3F30008 1C220522
	buffer_load_dwordx4 a[16:19], v34, s[24:27], 0 offen       // 00000000313C: E05C1000 80861022
	v_mfma_f32_16x16x32_fp8_fp8 v[8:11], a[36:37], a[4:5], v[8:11]// 000000003144: D3F30008 1C220924
	s_add_u32 s60, 0x180, s80                                  // 00000000314C: 803C50FF 00000180
	s_cmp_lt_u32 s60, s81                                      // 000000003154: BF0A513C
	s_cselect_b32 s57, s57, 0                                  // 000000003158: 85398039
	s_cselect_b32 s3, s3, 0                                    // 00000000315C: 85038003
	v_mfma_f32_16x16x32_fp8_fp8 v[8:11], a[38:39], a[6:7], v[8:11]// 000000003160: D3F30008 1C220D26
	ds_read_b128 a[8:11], v2 offset:2176                       // 000000003168: DBFE0880 08000002
	ds_read_b128 a[12:15], v2 offset:2240                      // 000000003170: DBFE08C0 0C000002
	s_add_u32 s60, 0x100, s80                                  // 000000003178: 803C50FF 00000100
	s_cmp_lt_u32 s60, s81                                      // 000000003180: BF0A513C
	s_cselect_b32 s58, s58, 0                                  // 000000003184: 853A803A
	v_mfma_f32_16x16x32_fp8_fp8 v[12:15], a[40:41], a[0:1], 0  // 000000003188: D3F3000C 1A020128
	v_mfma_f32_16x16x32_fp8_fp8 v[12:15], a[42:43], a[2:3], v[12:15]// 000000003190: D3F3000C 1C32052A
	buffer_load_dwordx4 a[20:23], v34, s[24:27], 0 offen offset:1024// 000000003198: E05C1400 80861422
	s_add_u32 s20, s57, s20                                    // 0000000031A0: 80141439
	s_addc_u32 s21, 0, s21                                     // 0000000031A4: 82151580
	s_add_u32 s28, s3, s28                                     // 0000000031A8: 801C1C03
	s_addc_u32 s29, 0, s29                                     // 0000000031AC: 821D1D80
	v_mfma_f32_16x16x32_fp8_fp8 v[12:15], a[44:45], a[4:5], v[12:15]// 0000000031B0: D3F3000C 1C32092C
	s_add_u32 s84, s83, s84                                    // 0000000031B8: 80545453
	s_addc_u32 s85, 0, s85                                     // 0000000031BC: 82555580
	v_mfma_f32_16x16x32_fp8_fp8 v[12:15], a[46:47], a[6:7], v[12:15]// 0000000031C0: D3F3000C 1C320D2E
	v_fma_f32 v44, v8, v4, v44                                 // 0000000031C8: D1CB002C 04B20908
	v_fma_f32 v45, v9, v4, v45                                 // 0000000031D0: D1CB002D 04B60909
	v_fma_f32 v46, v10, v4, v46                                // 0000000031D8: D1CB002E 04BA090A
	v_fma_f32 v47, v11, v4, v47                                // 0000000031E0: D1CB002F 04BE090B
	v_fma_f32 v48, v12, v4, v48                                // 0000000031E8: D1CB0030 04C2090C
	v_fma_f32 v49, v13, v4, v49                                // 0000000031F0: D1CB0031 04C6090D
	v_fma_f32 v50, v14, v4, v50                                // 0000000031F8: D1CB0032 04CA090E
	v_fma_f32 v51, v15, v4, v51                                // 000000003200: D1CB0033 04CE090F
	buffer_load_dwordx4 a[24:27], v35, s[24:27], 0 offen       // 000000003208: E05C1000 80861823
	buffer_load_dwordx4 a[28:31], v35, s[24:27], 0 offen offset:1024// 000000003210: E05C1400 80861C23
	s_add_u32 s24, s58, s24                                    // 000000003218: 8018183A
	s_addc_u32 s25, 0, s25                                     // 00000000321C: 82191980
	s_addk_i32 s80, 0x80                                       // 000000003220: B7500080
	s_cmp_lt_i32 s80, s81                                      // 000000003224: BF045150
	s_cbranch_scc0 label_0293                                  // 000000003228: BF840088
	s_waitcnt vmcnt(2) lgkmcnt(0)                              // 00000000322C: BF8C0072
	s_barrier                                                  // 000000003230: BF8A0000
	v_mov_b32_e32 v31, v30                                     // 000000003234: 7E3E031E
	v_mul_f32_dpp v4, v24, v31 row_newbcast:0 row_mask:0xf bank_mask:0xf// 000000003238: 0A083EFA FF015018
	v_mfma_f32_16x16x32_fp8_fp8 v[8:11], a[16:17], a[8:9], 0   // 000000003240: D3F30008 1A021110
	buffer_load_dword v27, v23, s[32:35], 0 offen              // 000000003248: E0501000 80081B17
	v_mfma_f32_16x16x32_fp8_fp8 v[8:11], a[18:19], a[10:11], v[8:11]// 000000003250: D3F30008 1C221512
	buffer_load_dwordx4 a[32:35], v34, s[84:87], 0 offen       // 000000003258: E05C1000 80952022
	v_mfma_f32_16x16x32_fp8_fp8 v[8:11], a[20:21], a[12:13], v[8:11]// 000000003260: D3F30008 1C221914
	v_mfma_f32_16x16x32_fp8_fp8 v[8:11], a[22:23], a[14:15], v[8:11]// 000000003268: D3F30008 1C221D16
	s_waitcnt vmcnt(2)                                         // 000000003270: BF8C0F72
	v_mul_f32_dpp v6, v24, v31 row_newbcast:0 row_mask:0xf bank_mask:0xf// 000000003274: 0A0C3EFA FF015018
	v_mfma_f32_16x16x32_fp8_fp8 v[12:15], a[24:25], a[8:9], 0  // 00000000327C: D3F3000C 1A021118
	v_mfma_f32_16x16x32_fp8_fp8 v[12:15], a[26:27], a[10:11], v[12:15]// 000000003284: D3F3000C 1C32151A
	buffer_load_dwordx4 a[36:39], v34, s[84:87], 0 offen offset:1024// 00000000328C: E05C1400 80952422
	s_add_u32 s60, 0x80, s80                                   // 000000003294: 803C50FF 00000080
	s_cmp_lt_u32 s60, s81                                      // 00000000329C: BF0A513C
	s_cselect_b32 s83, s83, 0                                  // 0000000032A0: 85538053
	s_cselect_b32 s4, s4, 0                                    // 0000000032A4: 85048004
	v_mfma_f32_16x16x32_fp8_fp8 v[12:15], a[28:29], a[12:13], v[12:15]// 0000000032A8: D3F3000C 1C32191C
	s_add_u32 s32, s4, s32                                     // 0000000032B0: 80202004
	s_addc_u32 s33, 0, s33                                     // 0000000032B4: 82212180
	v_mfma_f32_16x16x32_fp8_fp8 v[12:15], a[30:31], a[14:15], v[12:15]// 0000000032B8: D3F3000C 1C321D1E
	v_fma_f32 v36, v8, v4, v36                                 // 0000000032C0: D1CB0024 04920908
	v_fma_f32 v37, v9, v4, v37                                 // 0000000032C8: D1CB0025 04960909
	v_fma_f32 v38, v10, v4, v38                                // 0000000032D0: D1CB0026 049A090A
	v_fma_f32 v39, v11, v4, v39                                // 0000000032D8: D1CB0027 049E090B
	v_fma_f32 v40, v12, v6, v40                                // 0000000032E0: D1CB0028 04A20D0C
	v_fma_f32 v41, v13, v6, v41                                // 0000000032E8: D1CB0029 04A60D0D
	v_fma_f32 v42, v14, v6, v42                                // 0000000032F0: D1CB002A 04AA0D0E
	v_fma_f32 v43, v15, v6, v43                                // 0000000032F8: D1CB002B 04AE0D0F
	buffer_load_dwordx4 a[40:43], v35, s[84:87], 0 offen       // 000000003300: E05C1000 80952823
	buffer_load_dwordx4 a[44:47], v35, s[84:87], 0 offen offset:1024// 000000003308: E05C1400 80952C23
	buffer_load_dword v32, s[20:23], 0 offen lds               // 000000003310: E0511000 80050020
	s_add_u32 m0, 0x100, s49                                   // 000000003318: 807C31FF 00000100
	buffer_load_dword v33, s[20:23], 0 offen lds               // 000000003320: E0511000 80050021
	s_add_u32 m0, 0, s48                                       // 000000003328: 807C3080
	buffer_load_dword v30, v28, s[28:31], 0 offen              // 00000000332C: E0501000 80071E1C
	s_waitcnt vmcnt(3)                                         // 000000003334: BF8C0F73
	v_mul_f32_dpp v4, v27, v31 row_newbcast:0 row_mask:0xf bank_mask:0xf// 000000003338: 0A083EFA FF01501B
	v_mfma_f32_16x16x32_fp8_fp8 v[8:11], a[32:33], a[8:9], 0   // 000000003340: D3F30008 1A021120
	buffer_load_dword v24, v22, s[32:35], 0 offen              // 000000003348: E0501000 80081816
	v_mfma_f32_16x16x32_fp8_fp8 v[8:11], a[34:35], a[10:11], v[8:11]// 000000003350: D3F30008 1C221522
	buffer_load_dwordx4 a[16:19], v34, s[24:27], 0 offen       // 000000003358: E05C1000 80861022
	v_mfma_f32_16x16x32_fp8_fp8 v[8:11], a[36:37], a[12:13], v[8:11]// 000000003360: D3F30008 1C221924
	s_add_u32 s60, 0x180, s80                                  // 000000003368: 803C50FF 00000180
	s_cmp_lt_u32 s60, s81                                      // 000000003370: BF0A513C
	s_cselect_b32 s57, s57, 0                                  // 000000003374: 85398039
	s_cselect_b32 s3, s3, 0                                    // 000000003378: 85038003
	v_mfma_f32_16x16x32_fp8_fp8 v[8:11], a[38:39], a[14:15], v[8:11]// 00000000337C: D3F30008 1C221D26
	ds_read_b128 a[0:3], v2                                    // 000000003384: DBFE0000 00000002
	ds_read_b128 a[4:7], v2 offset:64                          // 00000000338C: DBFE0040 04000002
	s_add_u32 s60, 0x100, s80                                  // 000000003394: 803C50FF 00000100
	s_cmp_lt_u32 s60, s81                                      // 00000000339C: BF0A513C
	s_cselect_b32 s58, s58, 0                                  // 0000000033A0: 853A803A
	v_mfma_f32_16x16x32_fp8_fp8 v[12:15], a[40:41], a[8:9], 0  // 0000000033A4: D3F3000C 1A021128
	v_mfma_f32_16x16x32_fp8_fp8 v[12:15], a[42:43], a[10:11], v[12:15]// 0000000033AC: D3F3000C 1C32152A
	buffer_load_dwordx4 a[20:23], v34, s[24:27], 0 offen offset:1024// 0000000033B4: E05C1400 80861422
	s_add_u32 s20, s57, s20                                    // 0000000033BC: 80141439
	s_addc_u32 s21, 0, s21                                     // 0000000033C0: 82151580
	s_add_u32 s28, s3, s28                                     // 0000000033C4: 801C1C03
	s_addc_u32 s29, 0, s29                                     // 0000000033C8: 821D1D80
	v_mfma_f32_16x16x32_fp8_fp8 v[12:15], a[44:45], a[12:13], v[12:15]// 0000000033CC: D3F3000C 1C32192C
	s_add_u32 s84, s83, s84                                    // 0000000033D4: 80545453
	s_addc_u32 s85, 0, s85                                     // 0000000033D8: 82555580
	v_mfma_f32_16x16x32_fp8_fp8 v[12:15], a[46:47], a[14:15], v[12:15]// 0000000033DC: D3F3000C 1C321D2E
	v_fma_f32 v44, v8, v4, v44                                 // 0000000033E4: D1CB002C 04B20908
	v_fma_f32 v45, v9, v4, v45                                 // 0000000033EC: D1CB002D 04B60909
	v_fma_f32 v46, v10, v4, v46                                // 0000000033F4: D1CB002E 04BA090A
	v_fma_f32 v47, v11, v4, v47                                // 0000000033FC: D1CB002F 04BE090B
	v_fma_f32 v48, v12, v4, v48                                // 000000003404: D1CB0030 04C2090C
	v_fma_f32 v49, v13, v4, v49                                // 00000000340C: D1CB0031 04C6090D
	v_fma_f32 v50, v14, v4, v50                                // 000000003414: D1CB0032 04CA090E
	v_fma_f32 v51, v15, v4, v51                                // 00000000341C: D1CB0033 04CE090F
	buffer_load_dwordx4 a[24:27], v35, s[24:27], 0 offen       // 000000003424: E05C1000 80861823
	buffer_load_dwordx4 a[28:31], v35, s[24:27], 0 offen offset:1024// 00000000342C: E05C1400 80861C23
	s_add_u32 s24, s58, s24                                    // 000000003434: 8018183A
	s_addc_u32 s25, 0, s25                                     // 000000003438: 82191980
	s_addk_i32 s80, 0x80                                       // 00000000343C: B7500080
	s_cmp_lt_i32 s80, s81                                      // 000000003440: BF045150
	s_cbranch_scc0 label_0293                                  // 000000003444: BF840001
	s_branch label_0184                                        // 000000003448: BF82FEF1

000000000000344c <label_0293>:
	s_cmp_eq_u32 s88, 0                                        // 00000000344C: BF068058
	s_cbranch_scc0 label_042D                                  // 000000003450: BF840198
	s_cmp_eq_u32 s89, 0                                        // 000000003454: BF068059
	s_cbranch_scc1 label_02EC                                  // 000000003458: BF850055
	v_mov_b32_e32 v8, v1                                       // 00000000345C: 7E100301
	v_mov_b32_e32 v9, v1                                       // 000000003460: 7E120301
	s_mov_b32 s60, s6                                          // 000000003464: BEBC0006
	s_mov_b32 s61, s6                                          // 000000003468: BEBD0006
	v_pk_mul_f32 v[4:5], v[36:37], v[36:37]                    // 00000000346C: D3B14004 18024924
	v_pk_mul_f32 v[6:7], v[38:39], v[38:39]                    // 000000003474: D3B14006 18024D26
	v_pk_fma_f32 v[4:5], v[4:5], s[78:79], v[8:9]              // 00000000347C: D3B04004 1C209D04
	v_pk_fma_f32 v[6:7], v[6:7], s[78:79], v[8:9]              // 000000003484: D3B04006 1C209D06
	v_pk_mul_f32 v[4:5], v[4:5], v[36:37]                      // 00000000348C: D3B14004 18024904
	v_pk_mul_f32 v[6:7], v[6:7], v[38:39]                      // 000000003494: D3B14006 18024D06
	v_pk_mul_f32 v[4:5], v[4:5], s[60:61]                      // 00000000349C: D3B14004 18007904
	v_pk_mul_f32 v[6:7], v[6:7], s[60:61]                      // 0000000034A4: D3B14006 18007906
	v_exp_f32_e32 v4, v4                                       // 0000000034AC: 7E084104
	v_exp_f32_e32 v5, v5                                       // 0000000034B0: 7E0A4105
	v_exp_f32_e32 v6, v6                                       // 0000000034B4: 7E0C4106
	v_exp_f32_e32 v7, v7                                       // 0000000034B8: 7E0E4107
	v_add_f32_e64 v4, v4, 1.0                                  // 0000000034BC: D1010004 0001E504
	v_add_f32_e64 v5, v5, 1.0                                  // 0000000034C4: D1010005 0001E505
	v_add_f32_e64 v6, v6, 1.0                                  // 0000000034CC: D1010006 0001E506
	v_add_f32_e64 v7, v7, 1.0                                  // 0000000034D4: D1010007 0001E507
	v_rcp_f32_e32 v4, v4                                       // 0000000034DC: 7E084504
	v_rcp_f32_e32 v5, v5                                       // 0000000034E0: 7E0A4505
	v_rcp_f32_e32 v6, v6                                       // 0000000034E4: 7E0C4506
	v_rcp_f32_e32 v7, v7                                       // 0000000034E8: 7E0E4507
	v_mul_f32_e32 v36, v36, v4                                 // 0000000034EC: 0A480924
	v_mul_f32_e32 v37, v37, v5                                 // 0000000034F0: 0A4A0B25
	v_mul_f32_e32 v38, v38, v6                                 // 0000000034F4: 0A4C0D26
	v_mul_f32_e32 v39, v39, v7                                 // 0000000034F8: 0A4E0F27
	v_mul_f32_e32 v36, v36, v44                                // 0000000034FC: 0A485924
	v_mul_f32_e32 v37, v37, v45                                // 000000003500: 0A4A5B25
	v_mul_f32_e32 v38, v38, v46                                // 000000003504: 0A4C5D26
	v_mul_f32_e32 v39, v39, v47                                // 000000003508: 0A4E5F27
	v_pk_mul_f32 v[4:5], v[40:41], v[40:41]                    // 00000000350C: D3B14004 18025128
	v_pk_mul_f32 v[6:7], v[42:43], v[42:43]                    // 000000003514: D3B14006 1802552A
	v_pk_fma_f32 v[4:5], v[4:5], s[78:79], v[8:9]              // 00000000351C: D3B04004 1C209D04
	v_pk_fma_f32 v[6:7], v[6:7], s[78:79], v[8:9]              // 000000003524: D3B04006 1C209D06
	v_pk_mul_f32 v[4:5], v[4:5], v[40:41]                      // 00000000352C: D3B14004 18025104
	v_pk_mul_f32 v[6:7], v[6:7], v[42:43]                      // 000000003534: D3B14006 18025506
	v_pk_mul_f32 v[4:5], v[4:5], s[60:61]                      // 00000000353C: D3B14004 18007904
	v_pk_mul_f32 v[6:7], v[6:7], s[60:61]                      // 000000003544: D3B14006 18007906
	v_exp_f32_e32 v4, v4                                       // 00000000354C: 7E084104
	v_exp_f32_e32 v5, v5                                       // 000000003550: 7E0A4105
	v_exp_f32_e32 v6, v6                                       // 000000003554: 7E0C4106
	v_exp_f32_e32 v7, v7                                       // 000000003558: 7E0E4107
	v_add_f32_e64 v4, v4, 1.0                                  // 00000000355C: D1010004 0001E504
	v_add_f32_e64 v5, v5, 1.0                                  // 000000003564: D1010005 0001E505
	v_add_f32_e64 v6, v6, 1.0                                  // 00000000356C: D1010006 0001E506
	v_add_f32_e64 v7, v7, 1.0                                  // 000000003574: D1010007 0001E507
	v_rcp_f32_e32 v4, v4                                       // 00000000357C: 7E084504
	v_rcp_f32_e32 v5, v5                                       // 000000003580: 7E0A4505
	v_rcp_f32_e32 v6, v6                                       // 000000003584: 7E0C4506
	v_rcp_f32_e32 v7, v7                                       // 000000003588: 7E0E4507
	v_mul_f32_e32 v40, v40, v4                                 // 00000000358C: 0A500928
	v_mul_f32_e32 v41, v41, v5                                 // 000000003590: 0A520B29
	v_mul_f32_e32 v42, v42, v6                                 // 000000003594: 0A540D2A
	v_mul_f32_e32 v43, v43, v7                                 // 000000003598: 0A560F2B
	v_mul_f32_e32 v40, v40, v48                                // 00000000359C: 0A506128
	v_mul_f32_e32 v41, v41, v49                                // 0000000035A0: 0A526329
	v_mul_f32_e32 v42, v42, v50                                // 0000000035A4: 0A54652A
	v_mul_f32_e32 v43, v43, v51                                // 0000000035A8: 0A56672B
	s_branch label_032C                                        // 0000000035AC: BF820040

00000000000035b0 <label_02EC>:
	v_mul_f32_e64 v4, -v36, s6                                 // 0000000035B0: D1050004 20000D24
	v_mul_f32_e64 v5, -v37, s6                                 // 0000000035B8: D1050005 20000D25
	v_mul_f32_e64 v6, -v38, s6                                 // 0000000035C0: D1050006 20000D26
	v_mul_f32_e64 v7, -v39, s6                                 // 0000000035C8: D1050007 20000D27
	v_exp_f32_e32 v4, v4                                       // 0000000035D0: 7E084104
	v_exp_f32_e32 v5, v5                                       // 0000000035D4: 7E0A4105
	v_exp_f32_e32 v6, v6                                       // 0000000035D8: 7E0C4106
	v_exp_f32_e32 v7, v7                                       // 0000000035DC: 7E0E4107
	v_add_f32_e64 v4, v4, 1.0                                  // 0000000035E0: D1010004 0001E504
	v_add_f32_e64 v5, v5, 1.0                                  // 0000000035E8: D1010005 0001E505
	v_add_f32_e64 v6, v6, 1.0                                  // 0000000035F0: D1010006 0001E506
	v_add_f32_e64 v7, v7, 1.0                                  // 0000000035F8: D1010007 0001E507
	v_rcp_f32_e32 v4, v4                                       // 000000003600: 7E084504
	v_rcp_f32_e32 v5, v5                                       // 000000003604: 7E0A4505
	v_rcp_f32_e32 v6, v6                                       // 000000003608: 7E0C4506
	v_rcp_f32_e32 v7, v7                                       // 00000000360C: 7E0E4507
	v_mul_f32_e32 v36, v36, v4                                 // 000000003610: 0A480924
	v_mul_f32_e32 v37, v37, v5                                 // 000000003614: 0A4A0B25
	v_mul_f32_e32 v38, v38, v6                                 // 000000003618: 0A4C0D26
	v_mul_f32_e32 v39, v39, v7                                 // 00000000361C: 0A4E0F27
	v_mul_f32_e32 v36, v36, v44                                // 000000003620: 0A485924
	v_mul_f32_e32 v37, v37, v45                                // 000000003624: 0A4A5B25
	v_mul_f32_e32 v38, v38, v46                                // 000000003628: 0A4C5D26
	v_mul_f32_e32 v39, v39, v47                                // 00000000362C: 0A4E5F27
	v_mul_f32_e64 v4, -v40, s6                                 // 000000003630: D1050004 20000D28
	v_mul_f32_e64 v5, -v41, s6                                 // 000000003638: D1050005 20000D29
	v_mul_f32_e64 v6, -v42, s6                                 // 000000003640: D1050006 20000D2A
	v_mul_f32_e64 v7, -v43, s6                                 // 000000003648: D1050007 20000D2B
	v_exp_f32_e32 v4, v4                                       // 000000003650: 7E084104
	v_exp_f32_e32 v5, v5                                       // 000000003654: 7E0A4105
	v_exp_f32_e32 v6, v6                                       // 000000003658: 7E0C4106
	v_exp_f32_e32 v7, v7                                       // 00000000365C: 7E0E4107
	v_add_f32_e64 v4, v4, 1.0                                  // 000000003660: D1010004 0001E504
	v_add_f32_e64 v5, v5, 1.0                                  // 000000003668: D1010005 0001E505
	v_add_f32_e64 v6, v6, 1.0                                  // 000000003670: D1010006 0001E506
	v_add_f32_e64 v7, v7, 1.0                                  // 000000003678: D1010007 0001E507
	v_rcp_f32_e32 v4, v4                                       // 000000003680: 7E084504
	v_rcp_f32_e32 v5, v5                                       // 000000003684: 7E0A4505
	v_rcp_f32_e32 v6, v6                                       // 000000003688: 7E0C4506
	v_rcp_f32_e32 v7, v7                                       // 00000000368C: 7E0E4507
	v_mul_f32_e32 v40, v40, v4                                 // 000000003690: 0A500928
	v_mul_f32_e32 v41, v41, v5                                 // 000000003694: 0A520B29
	v_mul_f32_e32 v42, v42, v6                                 // 000000003698: 0A540D2A
	v_mul_f32_e32 v43, v43, v7                                 // 00000000369C: 0A560F2B
	v_mul_f32_e32 v40, v40, v48                                // 0000000036A0: 0A506128
	v_mul_f32_e32 v41, v41, v49                                // 0000000036A4: 0A526329
	v_mul_f32_e32 v42, v42, v50                                // 0000000036A8: 0A54652A
	v_mul_f32_e32 v43, v43, v51                                // 0000000036AC: 0A56672B

00000000000036b0 <label_032C>:
	s_cmp_eq_u32 s7, 0                                         // 0000000036B0: BF068007
	s_cbranch_scc0 label_0333                                  // 0000000036B4: BF840005
	v_and_b32_e32 v4, 15, v0                                   // 0000000036B8: 2608008F
	v_lshlrev_b32_e32 v4, 2, v4                                // 0000000036BC: 24080882
	buffer_load_dword v28, v4, s[12:15], 0 offen               // 0000000036C0: E0501000 80031C04
	v_add_u32_e32 v4, 64, v4                                   // 0000000036C8: 680808C0

00000000000036cc <label_0333>:
	v_lshlrev_b32_e32 v4, 2, v0                                // 0000000036CC: 24080082
	s_mul_i32 s60, 0x100, s7                                   // 0000000036D0: 923C07FF 00000100
	v_add_u32_e32 v45, s60, v4                                 // 0000000036D8: 685A083C
	v_and_b32_e32 v4, 15, v0                                   // 0000000036DC: 2608008F
	v_lshlrev_b32_e32 v46, 2, v4                               // 0000000036E0: 245C0882
	s_waitcnt lgkmcnt(0)                                       // 0000000036E4: BF8CC07F
	s_barrier                                                  // 0000000036E8: BF8A0000
	v_mov_b32_e32 v44, 0x358637bd                              // 0000000036EC: 7E5802FF 358637BD
	v_max3_f32 v44, |v36|, |v37|, v44                          // 0000000036F4: D1D3032C 04B24B24
	v_max3_f32 v44, |v38|, |v39|, v44                          // 0000000036FC: D1D3032C 04B24F26
	v_max3_f32 v44, |v40|, |v41|, v44                          // 000000003704: D1D3032C 04B25328
	v_max3_f32 v44, |v42|, |v43|, v44                          // 00000000370C: D1D3032C 04B2572A
	ds_write_b32 v45, v44                                      // 000000003714: D81A0000 00002C2D
	s_waitcnt lgkmcnt(0)                                       // 00000000371C: BF8CC07F
	s_barrier                                                  // 000000003720: BF8A0000
	ds_read_b32 v4, v46                                        // 000000003724: D86C0000 0400002E
	ds_read_b32 v5, v46 offset:64                              // 00000000372C: D86C0040 0500002E
	ds_read_b32 v6, v46 offset:128                             // 000000003734: D86C0080 0600002E
	ds_read_b32 v7, v46 offset:192                             // 00000000373C: D86C00C0 0700002E
	ds_read_b32 v8, v46 offset:256                             // 000000003744: D86C0100 0800002E
	ds_read_b32 v9, v46 offset:320                             // 00000000374C: D86C0140 0900002E
	ds_read_b32 v10, v46 offset:384                            // 000000003754: D86C0180 0A00002E
	ds_read_b32 v11, v46 offset:448                            // 00000000375C: D86C01C0 0B00002E
	ds_read_b32 v12, v46 offset:512                            // 000000003764: D86C0200 0C00002E
	ds_read_b32 v13, v46 offset:576                            // 00000000376C: D86C0240 0D00002E
	ds_read_b32 v14, v46 offset:640                            // 000000003774: D86C0280 0E00002E
	ds_read_b32 v15, v46 offset:704                            // 00000000377C: D86C02C0 0F00002E
	ds_read_b32 v16, v46 offset:768                            // 000000003784: D86C0300 1000002E
	ds_read_b32 v17, v46 offset:832                            // 00000000378C: D86C0340 1100002E
	ds_read_b32 v18, v46 offset:896                            // 000000003794: D86C0380 1200002E
	ds_read_b32 v19, v46 offset:960                            // 00000000379C: D86C03C0 1300002E
	s_waitcnt lgkmcnt(0)                                       // 0000000037A4: BF8CC07F
	s_barrier                                                  // 0000000037A8: BF8A0000
	v_max3_f32 v44, |v4|, |v5|, v44                            // 0000000037AC: D1D3032C 04B20B04
	v_max3_f32 v44, |v6|, |v7|, v44                            // 0000000037B4: D1D3032C 04B20F06
	v_max3_f32 v44, |v8|, |v9|, v44                            // 0000000037BC: D1D3032C 04B21308
	v_max3_f32 v44, |v10|, |v11|, v44                          // 0000000037C4: D1D3032C 04B2170A
	v_max3_f32 v44, |v12|, |v13|, v44                          // 0000000037CC: D1D3032C 04B21B0C
	v_max3_f32 v44, |v14|, |v15|, v44                          // 0000000037D4: D1D3032C 04B21F0E
	v_max3_f32 v44, |v16|, |v17|, v44                          // 0000000037DC: D1D3032C 04B22310
	v_max3_f32 v44, |v18|, |v19|, v44                          // 0000000037E4: D1D3032C 04B22712
	v_rcp_f32_e32 v44, v44                                     // 0000000037EC: 7E58452C
	v_mov_b32_e32 v4, 0x43700000                               // 0000000037F0: 7E0802FF 43700000
	v_mul_f32_e32 v44, v4, v44                                 // 0000000037F8: 0A585904
	v_mov_b32_e32 v4, v44                                      // 0000000037FC: 7E08032C
	v_mov_b32_e32 v5, v4                                       // 000000003800: 7E0A0304
	v_pk_mul_f32 v[36:37], v[4:5], v[36:37]                    // 000000003804: D3B14024 18024904
	v_pk_mul_f32 v[38:39], v[4:5], v[38:39]                    // 00000000380C: D3B14026 18024D04
	v_cvt_pk_fp8_f32 v36, v36, v37                             // 000000003814: D2A20024 00024B24
	v_cvt_pk_fp8_f32 v36, v38, v39 op_sel:[0,0,1]              // 00000000381C: D2A24024 00024F26
	v_pk_mul_f32 v[40:41], v[4:5], v[40:41]                    // 000000003824: D3B14028 18025104
	v_pk_mul_f32 v[42:43], v[4:5], v[42:43]                    // 00000000382C: D3B1402A 18025504
	v_cvt_pk_fp8_f32 v40, v40, v41                             // 000000003834: D2A20028 00025328
	v_cvt_pk_fp8_f32 v40, v42, v43 op_sel:[0,0,1]              // 00000000383C: D2A24028 0002572A
	v_rcp_f32_e32 v44, v44                                     // 000000003844: 7E58452C
	v_lshrrev_b32_e32 v4, 5, v0                                // 000000003848: 20080085
	v_mul_lo_u32 v20, 34, v4                                   // 00000000384C: D2850014 000208A2
	v_and_b32_e32 v4, 31, v0                                   // 000000003854: 2608009F
	v_lshrrev_b32_e32 v5, 4, v4                                // 000000003858: 200A0884
	v_add_u32_e32 v20, v5, v20                                 // 00000000385C: 68282905
	v_and_b32_e32 v4, 15, v0                                   // 000000003860: 2608008F
	v_mul_lo_u32 v5, 2, v4                                     // 000000003864: D2850005 00020882
	v_add_u32_e32 v20, v5, v20                                 // 00000000386C: 68282905
	s_mul_i32 s60, s7, 0x44                                    // 000000003870: 923CFF07 00000044
	v_add_u32_e32 v20, s60, v20                                // 000000003878: 6828283C
	v_lshlrev_b32_e32 v20, 2, v20                              // 00000000387C: 24282882
	ds_write_b32 v20, v36                                      // 000000003880: D81A0000 00002414
	ds_write_b32 v20, v40 offset:1088                          // 000000003888: D81A0440 00002814
	v_lshrrev_b32_e32 v4, 5, v0                                // 000000003890: 20080085
	v_xor_b32_e32 v5, 1, v4                                    // 000000003894: 2A0A0881
	s_mul_i32 s60, s65, 1                                      // 000000003898: 923C8141
	s_cmp_eq_u32 s88, 0                                        // 00000000389C: BF068058
	s_cselect_b32 s61, 1, 8                                    // 0000000038A0: 853D8881
	s_mul_i32 s60, s61, s60                                    // 0000000038A4: 923C3C3D
	v_readlane_b32 s82, v3, 0                                  // 0000000038A8: D2890052 00010103
	s_lshr_b32 s61, s82, 24                                    // 0000000038B0: 8F3D9852
	s_and_b32 s82, s82, 0xffffff                               // 0000000038B4: 8652FF52 00FFFFFF
	s_mul_i32 s82, s82, s71                                    // 0000000038BC: 92524752
	s_mul_i32 s61, s60, s61                                    // 0000000038C0: 923D3D3C
	s_add_u32 s82, s82, s61                                    // 0000000038C4: 80523D52
	v_mul_lo_u32 v6, v5, s82                                   // 0000000038C8: D2850006 0000A505
	v_readlane_b32 s82, v3, 1                                  // 0000000038D0: D2890052 00010303
	s_lshr_b32 s61, s82, 24                                    // 0000000038D8: 8F3D9852
	s_and_b32 s82, s82, 0xffffff                               // 0000000038DC: 8652FF52 00FFFFFF
	s_mul_i32 s82, s82, s71                                    // 0000000038E4: 92524752
	s_mul_i32 s61, s60, s61                                    // 0000000038E8: 923D3D3C
	s_add_u32 s82, s82, s61                                    // 0000000038EC: 80523D52
	v_mul_lo_u32 v7, v4, s82                                   // 0000000038F0: D2850007 0000A504
	v_add_u32_e32 v32, v6, v7                                  // 0000000038F8: 68400F06
	v_readlane_b32 s82, v3, 2                                  // 0000000038FC: D2890052 00010503
	s_lshr_b32 s61, s82, 24                                    // 000000003904: 8F3D9852
	s_and_b32 s82, s82, 0xffffff                               // 000000003908: 8652FF52 00FFFFFF
	s_mul_i32 s82, s82, s71                                    // 000000003910: 92524752
	s_mul_i32 s61, s60, s61                                    // 000000003914: 923D3D3C
	s_add_u32 s82, s82, s61                                    // 000000003918: 80523D52
	v_mul_lo_u32 v6, v5, s82                                   // 00000000391C: D2850006 0000A505
	v_readlane_b32 s82, v3, 3                                  // 000000003924: D2890052 00010703
	s_lshr_b32 s61, s82, 24                                    // 00000000392C: 8F3D9852
	s_and_b32 s82, s82, 0xffffff                               // 000000003930: 8652FF52 00FFFFFF
	s_mul_i32 s82, s82, s71                                    // 000000003938: 92524752
	s_mul_i32 s61, s60, s61                                    // 00000000393C: 923D3D3C
	s_add_u32 s82, s82, s61                                    // 000000003940: 80523D52
	v_mul_lo_u32 v7, v4, s82                                   // 000000003944: D2850007 0000A504
	v_add_u32_e32 v33, v6, v7                                  // 00000000394C: 68420F06
	v_and_b32_e32 v4, 31, v0                                   // 000000003950: 2608009F
	v_lshrrev_b32_e32 v4, 1, v4                                // 000000003954: 20080881
	s_cmp_eq_u32 s88, 0                                        // 000000003958: BF068058
	s_cselect_b32 s61, 2, 4                                    // 00000000395C: 853D8482
	v_mul_lo_u32 v4, v4, s61                                   // 000000003960: D2850004 00007B04
	v_and_b32_e64 v5, v0, 1                                    // 000000003968: D1130005 00010300
	v_add_u32_e32 v4, v4, v5                                   // 000000003970: 68080B04
	v_lshlrev_b32_e32 v4, 2, v4                                // 000000003974: 24080882
	v_add_u32_e32 v32, v32, v4                                 // 000000003978: 68400920
	v_add_u32_e32 v33, v33, v4                                 // 00000000397C: 68420921
	s_waitcnt lgkmcnt(0)                                       // 000000003980: BF8CC07F
	s_barrier                                                  // 000000003984: BF8A0000
	ds_read_b32 v36, v21                                       // 000000003988: D86C0000 24000015
	ds_read_b32 v37, v21 offset:64                             // 000000003990: D86C0040 25000015
	s_waitcnt lgkmcnt(0)                                       // 000000003998: BF8CC07F
	s_mov_b32 s36, -1                                          // 00000000399C: BEA400C1
	s_mov_b32 s37, -1                                          // 0000000039A0: BEA500C1
	v_mov_b32_e32 v7, 0                                        // 0000000039A4: 7E0E0280
	s_or_b32 s9, s9, 0x40000                                   // 0000000039A8: 8709FF09 00040000
	s_mov_b64 exec, s[36:37]                                   // 0000000039B0: BEFE0124
	v_mov_b32_e32 v6, v32                                      // 0000000039B4: 7E0C0320
	s_mov_b64 s[60:61], 0                                      // 0000000039B8: BEBC0180
	v_readlane_b32 s82, v3, 0                                  // 0000000039BC: D2890052 00010103
	s_and_b32 s82, s82, 0xffffff                               // 0000000039C4: 8652FF52 00FFFFFF
	s_cmp_lt_u32 s82, s66                                      // 0000000039CC: BF0A4252
	s_cselect_b32 s20, s36, s60                                // 0000000039D0: 85143C24
	v_readlane_b32 s82, v3, 1                                  // 0000000039D4: D2890052 00010303
	s_and_b32 s82, s82, 0xffffff                               // 0000000039DC: 8652FF52 00FFFFFF
	s_cmp_lt_u32 s82, s66                                      // 0000000039E4: BF0A4252
	s_cselect_b32 s21, s36, s60                                // 0000000039E8: 85153C24
	s_mov_b64 exec, s[20:21]                                   // 0000000039EC: BEFE0114
	buffer_store_dword v36, v6, s[8:11], 0 offen               // 0000000039F0: E0701000 80022406
	s_mov_b64 exec, s[36:37]                                   // 0000000039F8: BEFE0124
	v_mov_b32_e32 v6, v33                                      // 0000000039FC: 7E0C0321
	s_mov_b64 s[60:61], 0                                      // 000000003A00: BEBC0180
	v_readlane_b32 s82, v3, 2                                  // 000000003A04: D2890052 00010503
	s_and_b32 s82, s82, 0xffffff                               // 000000003A0C: 8652FF52 00FFFFFF
	s_cmp_lt_u32 s82, s66                                      // 000000003A14: BF0A4252
	s_cselect_b32 s20, s36, s60                                // 000000003A18: 85143C24
	v_readlane_b32 s82, v3, 3                                  // 000000003A1C: D2890052 00010703
	s_and_b32 s82, s82, 0xffffff                               // 000000003A24: 8652FF52 00FFFFFF
	s_cmp_lt_u32 s82, s66                                      // 000000003A2C: BF0A4252
	s_cselect_b32 s21, s36, s60                                // 000000003A30: 85153C24
	s_mov_b64 exec, s[20:21]                                   // 000000003A34: BEFE0114
	buffer_store_dword v37, v6, s[8:11], 0 offen               // 000000003A38: E0701000 80022506
	s_mov_b64 exec, s[36:37]                                   // 000000003A40: BEFE0124
	s_cmp_eq_u32 s7, 0                                         // 000000003A44: BF068007
	s_cbranch_scc0 label_0925                                  // 000000003A48: BF84050F
	s_waitcnt vmcnt(2)                                         // 000000003A4C: BF8C0F72
	s_mov_b32 s8, s90                                          // 000000003A50: BE88005A
	s_mov_b32 s9, s91                                          // 000000003A54: BE89005B
	s_mul_i32 s60, s66, s71                                    // 000000003A58: 923C4742
	s_add_u32 s8, s60, s8                                      // 000000003A5C: 8008083C
	s_addc_u32 s9, 0, s9                                       // 000000003A60: 82090980
	s_lshr_b32 s71, s71, 5                                     // 000000003A64: 8F478547
	s_mul_i32 s60, s66, s71                                    // 000000003A68: 923C4742
	s_mov_b32 s10, s60                                         // 000000003A6C: BE8A003C
	s_lshr_b32 s61, s65, 5                                     // 000000003A70: 8F3D8541
	s_mul_i32 s60, s2, 4                                       // 000000003A74: 923C8402
	v_lshrrev_b32_e32 v4, 24, v28                              // 000000003A78: 20083898
	v_mul_lo_u32 v4, s61, v4                                   // 000000003A7C: D2850004 0002083D
	v_and_b32_e32 v28, 0xffffff, v28                           // 000000003A84: 263838FF 00FFFFFF
	v_mul_lo_u32 v28, s71, v28                                 // 000000003A8C: D285001C 00023847
	v_add_u32_e32 v28, v4, v28                                 // 000000003A94: 68383904
	v_add_u32_e32 v28, s60, v28                                // 000000003A98: 6838383C
	s_mov_b64 exec, 0xffff                                     // 000000003A9C: BEFE01FF 0000FFFF
	buffer_store_dword v44, v28, s[8:11], 0 offen              // 000000003AA4: E0701000 80022C1C
	s_mov_b64 exec, s[36:37]                                   // 000000003AAC: BEFE0124
	s_branch label_0925                                        // 000000003AB0: BF8204F5

0000000000003ab4 <label_042D>:
	ds_write_b64 v20, v[36:37]                                 // 000000003AB4: D89A0000 00002414
	ds_write_b64 v20, v[40:41] offset:2176                     // 000000003ABC: D89A0880 00002814
	v_lshrrev_b32_e32 v4, 5, v0                                // 000000003AC4: 20080085
	v_xor_b32_e32 v5, 1, v4                                    // 000000003AC8: 2A0A0881
	s_mul_i32 s60, s65, 1                                      // 000000003ACC: 923C8141
	s_cmp_eq_u32 s88, 0                                        // 000000003AD0: BF068058
	s_cselect_b32 s61, 1, 8                                    // 000000003AD4: 853D8881
	s_mul_i32 s60, s61, s60                                    // 000000003AD8: 923C3C3D
	v_readlane_b32 s82, v3, 0                                  // 000000003ADC: D2890052 00010103
	s_lshr_b32 s61, s82, 24                                    // 000000003AE4: 8F3D9852
	s_and_b32 s82, s82, 0xffffff                               // 000000003AE8: 8652FF52 00FFFFFF
	s_mul_i32 s82, s82, s71                                    // 000000003AF0: 92524752
	s_mul_i32 s61, s60, s61                                    // 000000003AF4: 923D3D3C
	s_add_u32 s82, s82, s61                                    // 000000003AF8: 80523D52
	v_mul_lo_u32 v6, v5, s82                                   // 000000003AFC: D2850006 0000A505
	v_readlane_b32 s82, v3, 1                                  // 000000003B04: D2890052 00010303
	s_lshr_b32 s61, s82, 24                                    // 000000003B0C: 8F3D9852
	s_and_b32 s82, s82, 0xffffff                               // 000000003B10: 8652FF52 00FFFFFF
	s_mul_i32 s82, s82, s71                                    // 000000003B18: 92524752
	s_mul_i32 s61, s60, s61                                    // 000000003B1C: 923D3D3C
	s_add_u32 s82, s82, s61                                    // 000000003B20: 80523D52
	v_mul_lo_u32 v7, v4, s82                                   // 000000003B24: D2850007 0000A504
	v_add_u32_e32 v32, v6, v7                                  // 000000003B2C: 68400F06
	v_readlane_b32 s82, v3, 2                                  // 000000003B30: D2890052 00010503
	s_lshr_b32 s61, s82, 24                                    // 000000003B38: 8F3D9852
	s_and_b32 s82, s82, 0xffffff                               // 000000003B3C: 8652FF52 00FFFFFF
	s_mul_i32 s82, s82, s71                                    // 000000003B44: 92524752
	s_mul_i32 s61, s60, s61                                    // 000000003B48: 923D3D3C
	s_add_u32 s82, s82, s61                                    // 000000003B4C: 80523D52
	v_mul_lo_u32 v6, v5, s82                                   // 000000003B50: D2850006 0000A505
	v_readlane_b32 s82, v3, 3                                  // 000000003B58: D2890052 00010703
	s_lshr_b32 s61, s82, 24                                    // 000000003B60: 8F3D9852
	s_and_b32 s82, s82, 0xffffff                               // 000000003B64: 8652FF52 00FFFFFF
	s_mul_i32 s82, s82, s71                                    // 000000003B6C: 92524752
	s_mul_i32 s61, s60, s61                                    // 000000003B70: 923D3D3C
	s_add_u32 s82, s82, s61                                    // 000000003B74: 80523D52
	v_mul_lo_u32 v7, v4, s82                                   // 000000003B78: D2850007 0000A504
	v_add_u32_e32 v33, v6, v7                                  // 000000003B80: 68420F06
	v_and_b32_e32 v4, 31, v0                                   // 000000003B84: 2608009F
	v_lshrrev_b32_e32 v4, 1, v4                                // 000000003B88: 20080881
	s_cmp_eq_u32 s88, 0                                        // 000000003B8C: BF068058
	s_cselect_b32 s61, 2, 4                                    // 000000003B90: 853D8482
	v_mul_lo_u32 v4, v4, s61                                   // 000000003B94: D2850004 00007B04
	v_and_b32_e64 v5, v0, 1                                    // 000000003B9C: D1130005 00010300
	v_add_u32_e32 v4, v4, v5                                   // 000000003BA4: 68080B04
	v_lshlrev_b32_e32 v4, 2, v4                                // 000000003BA8: 24080882
	v_add_u32_e32 v32, v32, v4                                 // 000000003BAC: 68400920
	v_add_u32_e32 v33, v33, v4                                 // 000000003BB0: 68420921
	s_waitcnt lgkmcnt(0)                                       // 000000003BB4: BF8CC07F
	s_barrier                                                  // 000000003BB8: BF8A0000
	ds_read_b32 v36, v21                                       // 000000003BBC: D86C0000 24000015
	ds_read_b32 v37, v21 offset:64                             // 000000003BC4: D86C0040 25000015
	ds_read_b32 v40, v21 offset:2176                           // 000000003BCC: D86C0880 28000015
	ds_read_b32 v41, v21 offset:2240                           // 000000003BD4: D86C08C0 29000015
	s_waitcnt lgkmcnt(0)                                       // 000000003BDC: BF8CC07F
	s_mov_b32 s36, -1                                          // 000000003BE0: BEA400C1
	s_mov_b32 s37, -1                                          // 000000003BE4: BEA500C1
	v_mov_b32_e32 v7, 0                                        // 000000003BE8: 7E0E0280
	s_mov_b64 exec, s[36:37]                                   // 000000003BEC: BEFE0124
	v_mov_b32_e32 v6, v32                                      // 000000003BF0: 7E0C0320
	s_mov_b64 s[60:61], 0                                      // 000000003BF4: BEBC0180
	v_readlane_b32 s82, v3, 0                                  // 000000003BF8: D2890052 00010103
	s_and_b32 s82, s82, 0xffffff                               // 000000003C00: 8652FF52 00FFFFFF
	s_cmp_lt_u32 s82, s66                                      // 000000003C08: BF0A4252
	s_cselect_b32 s20, s36, s60                                // 000000003C0C: 85143C24
	v_readlane_b32 s82, v3, 1                                  // 000000003C10: D2890052 00010303
	s_and_b32 s82, s82, 0xffffff                               // 000000003C18: 8652FF52 00FFFFFF
	s_cmp_lt_u32 s82, s66                                      // 000000003C20: BF0A4252
	s_cselect_b32 s21, s36, s60                                // 000000003C24: 85153C24
	s_mov_b64 exec, s[20:21]                                   // 000000003C28: BEFE0114
	global_atomic_add_f32 v6, v36, s[8:9]                      // 000000003C2C: DD348000 00082406
	global_atomic_add_f32 v6, v40, s[8:9] offset:256           // 000000003C34: DD348100 00082806
	s_mov_b64 exec, s[36:37]                                   // 000000003C3C: BEFE0124
	v_mov_b32_e32 v6, v33                                      // 000000003C40: 7E0C0321
	s_mov_b64 s[60:61], 0                                      // 000000003C44: BEBC0180
	v_readlane_b32 s82, v3, 2                                  // 000000003C48: D2890052 00010503
	s_and_b32 s82, s82, 0xffffff                               // 000000003C50: 8652FF52 00FFFFFF
	s_cmp_lt_u32 s82, s66                                      // 000000003C58: BF0A4252
	s_cselect_b32 s20, s36, s60                                // 000000003C5C: 85143C24
	v_readlane_b32 s82, v3, 3                                  // 000000003C60: D2890052 00010703
	s_and_b32 s82, s82, 0xffffff                               // 000000003C68: 8652FF52 00FFFFFF
	s_cmp_lt_u32 s82, s66                                      // 000000003C70: BF0A4252
	s_cselect_b32 s21, s36, s60                                // 000000003C74: 85153C24
	s_mov_b64 exec, s[20:21]                                   // 000000003C78: BEFE0114
	global_atomic_add_f32 v6, v37, s[8:9]                      // 000000003C7C: DD348000 00082506
	global_atomic_add_f32 v6, v41, s[8:9] offset:256           // 000000003C84: DD348100 00082906
	s_mov_b64 exec, s[36:37]                                   // 000000003C8C: BEFE0124
	ds_write_b64 v20, v[38:39]                                 // 000000003C90: D89A0000 00002614
	ds_write_b64 v20, v[42:43] offset:2176                     // 000000003C98: D89A0880 00002A14
	s_waitcnt lgkmcnt(0)                                       // 000000003CA0: BF8CC07F
	s_barrier                                                  // 000000003CA4: BF8A0000
	ds_read_b32 v38, v21                                       // 000000003CA8: D86C0000 26000015
	ds_read_b32 v39, v21 offset:64                             // 000000003CB0: D86C0040 27000015
	ds_read_b32 v42, v21 offset:2176                           // 000000003CB8: D86C0880 2A000015
	ds_read_b32 v43, v21 offset:2240                           // 000000003CC0: D86C08C0 2B000015
	s_waitcnt lgkmcnt(0)                                       // 000000003CC8: BF8CC07F
	v_mov_b32_e32 v7, 0                                        // 000000003CCC: 7E0E0280
	s_mov_b64 exec, s[36:37]                                   // 000000003CD0: BEFE0124
	v_mov_b32_e32 v6, v32                                      // 000000003CD4: 7E0C0320
	s_mov_b64 s[60:61], 0                                      // 000000003CD8: BEBC0180
	v_readlane_b32 s82, v3, 0                                  // 000000003CDC: D2890052 00010103
	s_and_b32 s82, s82, 0xffffff                               // 000000003CE4: 8652FF52 00FFFFFF
	s_cmp_lt_u32 s82, s66                                      // 000000003CEC: BF0A4252
	s_cselect_b32 s20, s36, s60                                // 000000003CF0: 85143C24
	v_readlane_b32 s82, v3, 1                                  // 000000003CF4: D2890052 00010303
	s_and_b32 s82, s82, 0xffffff                               // 000000003CFC: 8652FF52 00FFFFFF
	s_cmp_lt_u32 s82, s66                                      // 000000003D04: BF0A4252
	s_cselect_b32 s21, s36, s60                                // 000000003D08: 85153C24
	s_mov_b64 exec, s[20:21]                                   // 000000003D0C: BEFE0114
	global_atomic_add_f32 v6, v38, s[8:9] offset:8             // 000000003D10: DD348008 00082606
	global_atomic_add_f32 v6, v42, s[8:9] offset:264           // 000000003D18: DD348108 00082A06
	s_mov_b64 exec, s[36:37]                                   // 000000003D20: BEFE0124
	v_mov_b32_e32 v6, v33                                      // 000000003D24: 7E0C0321
	s_mov_b64 s[60:61], 0                                      // 000000003D28: BEBC0180
	v_readlane_b32 s82, v3, 2                                  // 000000003D2C: D2890052 00010503
	s_and_b32 s82, s82, 0xffffff                               // 000000003D34: 8652FF52 00FFFFFF
	s_cmp_lt_u32 s82, s66                                      // 000000003D3C: BF0A4252
	s_cselect_b32 s20, s36, s60                                // 000000003D40: 85143C24
	v_readlane_b32 s82, v3, 3                                  // 000000003D44: D2890052 00010703
	s_and_b32 s82, s82, 0xffffff                               // 000000003D4C: 8652FF52 00FFFFFF
	s_cmp_lt_u32 s82, s66                                      // 000000003D54: BF0A4252
	s_cselect_b32 s21, s36, s60                                // 000000003D58: 85153C24
	s_mov_b64 exec, s[20:21]                                   // 000000003D5C: BEFE0114
	global_atomic_add_f32 v6, v39, s[8:9] offset:8             // 000000003D60: DD348008 00082706
	global_atomic_add_f32 v6, v43, s[8:9] offset:264           // 000000003D68: DD348108 00082B06
	s_mov_b64 exec, s[36:37]                                   // 000000003D70: BEFE0124
	ds_write_b64 v20, v[44:45]                                 // 000000003D74: D89A0000 00002C14
	ds_write_b64 v20, v[48:49] offset:2176                     // 000000003D7C: D89A0880 00003014
	s_waitcnt lgkmcnt(0)                                       // 000000003D84: BF8CC07F
	s_barrier                                                  // 000000003D88: BF8A0000
	ds_read_b32 v44, v21                                       // 000000003D8C: D86C0000 2C000015
	ds_read_b32 v45, v21 offset:64                             // 000000003D94: D86C0040 2D000015
	ds_read_b32 v48, v21 offset:2176                           // 000000003D9C: D86C0880 30000015
	ds_read_b32 v49, v21 offset:2240                           // 000000003DA4: D86C08C0 31000015
	s_mul_i32 s60, s65, 4                                      // 000000003DAC: 923C8441
	s_add_u32 s8, s60, s8                                      // 000000003DB0: 8008083C
	s_addc_u32 s9, 0, s9                                       // 000000003DB4: 82090980
	s_waitcnt lgkmcnt(0)                                       // 000000003DB8: BF8CC07F
	v_mov_b32_e32 v7, 0                                        // 000000003DBC: 7E0E0280
	s_mov_b64 exec, s[36:37]                                   // 000000003DC0: BEFE0124
	v_mov_b32_e32 v6, v32                                      // 000000003DC4: 7E0C0320
	s_mov_b64 s[60:61], 0                                      // 000000003DC8: BEBC0180
	v_readlane_b32 s82, v3, 0                                  // 000000003DCC: D2890052 00010103
	s_and_b32 s82, s82, 0xffffff                               // 000000003DD4: 8652FF52 00FFFFFF
	s_cmp_lt_u32 s82, s66                                      // 000000003DDC: BF0A4252
	s_cselect_b32 s20, s36, s60                                // 000000003DE0: 85143C24
	v_readlane_b32 s82, v3, 1                                  // 000000003DE4: D2890052 00010303
	s_and_b32 s82, s82, 0xffffff                               // 000000003DEC: 8652FF52 00FFFFFF
	s_cmp_lt_u32 s82, s66                                      // 000000003DF4: BF0A4252
	s_cselect_b32 s21, s36, s60                                // 000000003DF8: 85153C24
	s_mov_b64 exec, s[20:21]                                   // 000000003DFC: BEFE0114
	global_atomic_add_f32 v6, v44, s[8:9]                      // 000000003E00: DD348000 00082C06
	global_atomic_add_f32 v6, v48, s[8:9] offset:256           // 000000003E08: DD348100 00083006
	s_mov_b64 exec, s[36:37]                                   // 000000003E10: BEFE0124
	v_mov_b32_e32 v6, v33                                      // 000000003E14: 7E0C0321
	s_mov_b64 s[60:61], 0                                      // 000000003E18: BEBC0180
	v_readlane_b32 s82, v3, 2                                  // 000000003E1C: D2890052 00010503
	s_and_b32 s82, s82, 0xffffff                               // 000000003E24: 8652FF52 00FFFFFF
	s_cmp_lt_u32 s82, s66                                      // 000000003E2C: BF0A4252
	s_cselect_b32 s20, s36, s60                                // 000000003E30: 85143C24
	v_readlane_b32 s82, v3, 3                                  // 000000003E34: D2890052 00010703
	s_and_b32 s82, s82, 0xffffff                               // 000000003E3C: 8652FF52 00FFFFFF
	s_cmp_lt_u32 s82, s66                                      // 000000003E44: BF0A4252
	s_cselect_b32 s21, s36, s60                                // 000000003E48: 85153C24
	s_mov_b64 exec, s[20:21]                                   // 000000003E4C: BEFE0114
	global_atomic_add_f32 v6, v45, s[8:9]                      // 000000003E50: DD348000 00082D06
	global_atomic_add_f32 v6, v49, s[8:9] offset:256           // 000000003E58: DD348100 00083106
	s_mov_b64 exec, s[36:37]                                   // 000000003E60: BEFE0124
	ds_write_b64 v20, v[46:47]                                 // 000000003E64: D89A0000 00002E14
	ds_write_b64 v20, v[50:51] offset:2176                     // 000000003E6C: D89A0880 00003214
	s_waitcnt lgkmcnt(0)                                       // 000000003E74: BF8CC07F
	s_barrier                                                  // 000000003E78: BF8A0000
	ds_read_b32 v46, v21                                       // 000000003E7C: D86C0000 2E000015
	ds_read_b32 v47, v21 offset:64                             // 000000003E84: D86C0040 2F000015
	ds_read_b32 v50, v21 offset:2176                           // 000000003E8C: D86C0880 32000015
	ds_read_b32 v51, v21 offset:2240                           // 000000003E94: D86C08C0 33000015
	s_waitcnt lgkmcnt(0)                                       // 000000003E9C: BF8CC07F
	v_mov_b32_e32 v7, 0                                        // 000000003EA0: 7E0E0280
	s_mov_b64 exec, s[36:37]                                   // 000000003EA4: BEFE0124
	v_mov_b32_e32 v6, v32                                      // 000000003EA8: 7E0C0320
	s_mov_b64 s[60:61], 0                                      // 000000003EAC: BEBC0180
	v_readlane_b32 s82, v3, 0                                  // 000000003EB0: D2890052 00010103
	s_and_b32 s82, s82, 0xffffff                               // 000000003EB8: 8652FF52 00FFFFFF
	s_cmp_lt_u32 s82, s66                                      // 000000003EC0: BF0A4252
	s_cselect_b32 s20, s36, s60                                // 000000003EC4: 85143C24
	v_readlane_b32 s82, v3, 1                                  // 000000003EC8: D2890052 00010303
	s_and_b32 s82, s82, 0xffffff                               // 000000003ED0: 8652FF52 00FFFFFF
	s_cmp_lt_u32 s82, s66                                      // 000000003ED8: BF0A4252
	s_cselect_b32 s21, s36, s60                                // 000000003EDC: 85153C24
	s_mov_b64 exec, s[20:21]                                   // 000000003EE0: BEFE0114
	global_atomic_add_f32 v6, v46, s[8:9] offset:8             // 000000003EE4: DD348008 00082E06
	global_atomic_add_f32 v6, v50, s[8:9] offset:264           // 000000003EEC: DD348108 00083206
	s_mov_b64 exec, s[36:37]                                   // 000000003EF4: BEFE0124
	v_mov_b32_e32 v6, v33                                      // 000000003EF8: 7E0C0321
	s_mov_b64 s[60:61], 0                                      // 000000003EFC: BEBC0180
	v_readlane_b32 s82, v3, 2                                  // 000000003F00: D2890052 00010503
	s_and_b32 s82, s82, 0xffffff                               // 000000003F08: 8652FF52 00FFFFFF
	s_cmp_lt_u32 s82, s66                                      // 000000003F10: BF0A4252
	s_cselect_b32 s20, s36, s60                                // 000000003F14: 85143C24
	v_readlane_b32 s82, v3, 3                                  // 000000003F18: D2890052 00010703
	s_and_b32 s82, s82, 0xffffff                               // 000000003F20: 8652FF52 00FFFFFF
	s_cmp_lt_u32 s82, s66                                      // 000000003F28: BF0A4252
	s_cselect_b32 s21, s36, s60                                // 000000003F2C: 85153C24
	s_mov_b64 exec, s[20:21]                                   // 000000003F30: BEFE0114
	global_atomic_add_f32 v6, v47, s[8:9] offset:8             // 000000003F34: DD348008 00082F06
	global_atomic_add_f32 v6, v51, s[8:9] offset:264           // 000000003F3C: DD348108 00083306
	s_mov_b64 exec, s[36:37]                                   // 000000003F44: BEFE0124
	s_branch label_0925                                        // 000000003F48: BF8203CF

0000000000003f4c <label_0556>:
	s_waitcnt vmcnt(2) lgkmcnt(0)                              // 000000003F4C: BF8C0072
	s_barrier                                                  // 000000003F50: BF8A0000
	v_mov_b32_e32 v31, v29                                     // 000000003F54: 7E3E031D
	v_mul_f32_dpp v4, v24, v31 row_newbcast:0 row_mask:0xf bank_mask:0xf// 000000003F58: 0A083EFA FF015018
	v_mfma_f32_16x16x32_fp8_fp8 v[8:11], a[16:17], a[0:1], 0   // 000000003F60: D3F30008 1A020110
	buffer_load_dword v27, v23, s[32:35], 0 offen              // 000000003F68: E0501000 80081B17
	buffer_load_dwordx4 a[32:35], v34, s[84:87], 0 offen       // 000000003F70: E05C1000 80952022
	v_mfma_f32_16x16x32_fp8_fp8 v[8:11], a[18:19], a[2:3], v[8:11]// 000000003F78: D3F30008 1C220512
	v_mfma_f32_16x16x32_fp8_fp8 v[8:11], a[20:21], a[4:5], v[8:11]// 000000003F80: D3F30008 1C220914
	v_mfma_f32_16x16x32_fp8_fp8 v[8:11], a[22:23], a[6:7], v[8:11]// 000000003F88: D3F30008 1C220D16
	s_waitcnt vmcnt(2)                                         // 000000003F90: BF8C0F72
	v_mul_f32_dpp v6, v24, v31 row_newbcast:0 row_mask:0xf bank_mask:0xf// 000000003F94: 0A0C3EFA FF015018
	v_mfma_f32_16x16x32_fp8_fp8 v[12:15], a[24:25], a[0:1], 0  // 000000003F9C: D3F3000C 1A020118
	buffer_load_dwordx4 a[36:39], v34, s[84:87], 0 offen offset:1024// 000000003FA4: E05C1400 80952422
	v_mfma_f32_16x16x32_fp8_fp8 v[12:15], a[26:27], a[2:3], v[12:15]// 000000003FAC: D3F3000C 1C32051A
	s_add_u32 s60, 0x80, s80                                   // 000000003FB4: 803C50FF 00000080
	s_cmp_lt_u32 s60, s81                                      // 000000003FBC: BF0A513C
	s_cselect_b32 s83, s83, 0                                  // 000000003FC0: 85538053
	s_cselect_b32 s4, s4, 0                                    // 000000003FC4: 85048004
	v_mfma_f32_16x16x32_fp8_fp8 v[12:15], a[28:29], a[4:5], v[12:15]// 000000003FC8: D3F3000C 1C32091C
	s_add_u32 s32, s4, s32                                     // 000000003FD0: 80202004
	s_addc_u32 s33, 0, s33                                     // 000000003FD4: 82212180
	v_mfma_f32_16x16x32_fp8_fp8 v[12:15], a[30:31], a[6:7], v[12:15]// 000000003FD8: D3F3000C 1C320D1E
	v_fma_f32 v36, v8, v4, v36                                 // 000000003FE0: D1CB0024 04920908
	v_fma_f32 v37, v9, v4, v37                                 // 000000003FE8: D1CB0025 04960909
	v_fma_f32 v38, v10, v4, v38                                // 000000003FF0: D1CB0026 049A090A
	v_fma_f32 v39, v11, v4, v39                                // 000000003FF8: D1CB0027 049E090B
	v_fma_f32 v40, v12, v6, v40                                // 000000004000: D1CB0028 04A20D0C
	v_fma_f32 v41, v13, v6, v41                                // 000000004008: D1CB0029 04A60D0D
	v_fma_f32 v42, v14, v6, v42                                // 000000004010: D1CB002A 04AA0D0E
	v_fma_f32 v43, v15, v6, v43                                // 000000004018: D1CB002B 04AE0D0F
	buffer_load_dwordx4 a[40:43], v35, s[84:87], 0 offen       // 000000004020: E05C1000 80952823
	buffer_load_dwordx4 a[44:47], v35, s[84:87], 0 offen offset:1024// 000000004028: E05C1400 80952C23
	buffer_load_dword v32, s[20:23], 0 offen lds               // 000000004030: E0511000 80050020
	s_add_u32 m0, 0x100, s48                                   // 000000004038: 807C30FF 00000100
	buffer_load_dword v33, s[20:23], 0 offen lds               // 000000004040: E0511000 80050021
	s_add_u32 m0, 0, s49                                       // 000000004048: 807C3180
	buffer_load_dword v29, v28, s[28:31], 0 offen              // 00000000404C: E0501000 80071D1C
	s_waitcnt vmcnt(3)                                         // 000000004054: BF8C0F73
	v_mul_f32_dpp v4, v27, v31 row_newbcast:0 row_mask:0xf bank_mask:0xf// 000000004058: 0A083EFA FF01501B
	v_mfma_f32_16x16x32_fp8_fp8 v[8:11], a[32:33], a[0:1], 0   // 000000004060: D3F30008 1A020120
	buffer_load_dword v24, v22, s[32:35], 0 offen              // 000000004068: E0501000 80081816
	buffer_load_dwordx4 a[16:19], v34, s[24:27], 0 offen       // 000000004070: E05C1000 80861022
	v_mfma_f32_16x16x32_fp8_fp8 v[8:11], a[34:35], a[2:3], v[8:11]// 000000004078: D3F30008 1C220522
	v_mfma_f32_16x16x32_fp8_fp8 v[8:11], a[36:37], a[4:5], v[8:11]// 000000004080: D3F30008 1C220924
	ds_read_b128 a[8:11], v2 offset:2176                       // 000000004088: DBFE0880 08000002
	ds_read_b128 a[12:15], v2 offset:2240                      // 000000004090: DBFE08C0 0C000002
	s_add_u32 s60, 0x180, s80                                  // 000000004098: 803C50FF 00000180
	s_cmp_lt_u32 s60, s81                                      // 0000000040A0: BF0A513C
	s_cselect_b32 s57, s57, 0                                  // 0000000040A4: 85398039
	s_cselect_b32 s3, s3, 0                                    // 0000000040A8: 85038003
	v_mfma_f32_16x16x32_fp8_fp8 v[8:11], a[38:39], a[6:7], v[8:11]// 0000000040AC: D3F30008 1C220D26
	s_add_u32 s60, 0x100, s80                                  // 0000000040B4: 803C50FF 00000100
	s_cmp_lt_u32 s60, s81                                      // 0000000040BC: BF0A513C
	s_cselect_b32 s58, s58, 0                                  // 0000000040C0: 853A803A
	v_mfma_f32_16x16x32_fp8_fp8 v[12:15], a[40:41], a[0:1], 0  // 0000000040C4: D3F3000C 1A020128
	buffer_load_dwordx4 a[20:23], v34, s[24:27], 0 offen offset:1024// 0000000040CC: E05C1400 80861422
	v_mfma_f32_16x16x32_fp8_fp8 v[12:15], a[42:43], a[2:3], v[12:15]// 0000000040D4: D3F3000C 1C32052A
	s_add_u32 s20, s57, s20                                    // 0000000040DC: 80141439
	s_addc_u32 s21, 0, s21                                     // 0000000040E0: 82151580
	s_add_u32 s28, s3, s28                                     // 0000000040E4: 801C1C03
	s_addc_u32 s29, 0, s29                                     // 0000000040E8: 821D1D80
	v_mfma_f32_16x16x32_fp8_fp8 v[12:15], a[44:45], a[4:5], v[12:15]// 0000000040EC: D3F3000C 1C32092C
	s_add_u32 s84, s83, s84                                    // 0000000040F4: 80545453
	s_addc_u32 s85, 0, s85                                     // 0000000040F8: 82555580
	v_mfma_f32_16x16x32_fp8_fp8 v[12:15], a[46:47], a[6:7], v[12:15]// 0000000040FC: D3F3000C 1C320D2E
	v_fma_f32 v44, v8, v4, v44                                 // 000000004104: D1CB002C 04B20908
	v_fma_f32 v45, v9, v4, v45                                 // 00000000410C: D1CB002D 04B60909
	v_fma_f32 v46, v10, v4, v46                                // 000000004114: D1CB002E 04BA090A
	v_fma_f32 v47, v11, v4, v47                                // 00000000411C: D1CB002F 04BE090B
	v_fma_f32 v48, v12, v4, v48                                // 000000004124: D1CB0030 04C2090C
	v_fma_f32 v49, v13, v4, v49                                // 00000000412C: D1CB0031 04C6090D
	v_fma_f32 v50, v14, v4, v50                                // 000000004134: D1CB0032 04CA090E
	v_fma_f32 v51, v15, v4, v51                                // 00000000413C: D1CB0033 04CE090F
	buffer_load_dwordx4 a[24:27], v35, s[24:27], 0 offen       // 000000004144: E05C1000 80861823
	buffer_load_dwordx4 a[28:31], v35, s[24:27], 0 offen offset:1024// 00000000414C: E05C1400 80861C23
	s_add_u32 s24, s58, s24                                    // 000000004154: 8018183A
	s_addc_u32 s25, 0, s25                                     // 000000004158: 82191980
	s_addk_i32 s80, 0x80                                       // 00000000415C: B7500080
	s_cmp_lt_i32 s80, s81                                      // 000000004160: BF045150
	s_cbranch_scc0 label_0665                                  // 000000004164: BF840088
	s_waitcnt vmcnt(2) lgkmcnt(0)                              // 000000004168: BF8C0072
	s_barrier                                                  // 00000000416C: BF8A0000
	v_mov_b32_e32 v31, v30                                     // 000000004170: 7E3E031E
	v_mul_f32_dpp v4, v24, v31 row_newbcast:0 row_mask:0xf bank_mask:0xf// 000000004174: 0A083EFA FF015018
	v_mfma_f32_16x16x32_fp8_fp8 v[8:11], a[16:17], a[8:9], 0   // 00000000417C: D3F30008 1A021110
	buffer_load_dword v27, v23, s[32:35], 0 offen              // 000000004184: E0501000 80081B17
	buffer_load_dwordx4 a[32:35], v34, s[84:87], 0 offen       // 00000000418C: E05C1000 80952022
	v_mfma_f32_16x16x32_fp8_fp8 v[8:11], a[18:19], a[10:11], v[8:11]// 000000004194: D3F30008 1C221512
	v_mfma_f32_16x16x32_fp8_fp8 v[8:11], a[20:21], a[12:13], v[8:11]// 00000000419C: D3F30008 1C221914
	v_mfma_f32_16x16x32_fp8_fp8 v[8:11], a[22:23], a[14:15], v[8:11]// 0000000041A4: D3F30008 1C221D16
	s_waitcnt vmcnt(2)                                         // 0000000041AC: BF8C0F72
	v_mul_f32_dpp v6, v24, v31 row_newbcast:0 row_mask:0xf bank_mask:0xf// 0000000041B0: 0A0C3EFA FF015018
	v_mfma_f32_16x16x32_fp8_fp8 v[12:15], a[24:25], a[8:9], 0  // 0000000041B8: D3F3000C 1A021118
	buffer_load_dwordx4 a[36:39], v34, s[84:87], 0 offen offset:1024// 0000000041C0: E05C1400 80952422
	v_mfma_f32_16x16x32_fp8_fp8 v[12:15], a[26:27], a[10:11], v[12:15]// 0000000041C8: D3F3000C 1C32151A
	s_add_u32 s60, 0x80, s80                                   // 0000000041D0: 803C50FF 00000080
	s_cmp_lt_u32 s60, s81                                      // 0000000041D8: BF0A513C
	s_cselect_b32 s83, s83, 0                                  // 0000000041DC: 85538053
	s_cselect_b32 s4, s4, 0                                    // 0000000041E0: 85048004
	v_mfma_f32_16x16x32_fp8_fp8 v[12:15], a[28:29], a[12:13], v[12:15]// 0000000041E4: D3F3000C 1C32191C
	s_add_u32 s32, s4, s32                                     // 0000000041EC: 80202004
	s_addc_u32 s33, 0, s33                                     // 0000000041F0: 82212180
	v_mfma_f32_16x16x32_fp8_fp8 v[12:15], a[30:31], a[14:15], v[12:15]// 0000000041F4: D3F3000C 1C321D1E
	v_fma_f32 v36, v8, v4, v36                                 // 0000000041FC: D1CB0024 04920908
	v_fma_f32 v37, v9, v4, v37                                 // 000000004204: D1CB0025 04960909
	v_fma_f32 v38, v10, v4, v38                                // 00000000420C: D1CB0026 049A090A
	v_fma_f32 v39, v11, v4, v39                                // 000000004214: D1CB0027 049E090B
	v_fma_f32 v40, v12, v6, v40                                // 00000000421C: D1CB0028 04A20D0C
	v_fma_f32 v41, v13, v6, v41                                // 000000004224: D1CB0029 04A60D0D
	v_fma_f32 v42, v14, v6, v42                                // 00000000422C: D1CB002A 04AA0D0E
	v_fma_f32 v43, v15, v6, v43                                // 000000004234: D1CB002B 04AE0D0F
	buffer_load_dwordx4 a[40:43], v35, s[84:87], 0 offen       // 00000000423C: E05C1000 80952823
	buffer_load_dwordx4 a[44:47], v35, s[84:87], 0 offen offset:1024// 000000004244: E05C1400 80952C23
	buffer_load_dword v32, s[20:23], 0 offen lds               // 00000000424C: E0511000 80050020
	s_add_u32 m0, 0x100, s49                                   // 000000004254: 807C31FF 00000100
	buffer_load_dword v33, s[20:23], 0 offen lds               // 00000000425C: E0511000 80050021
	s_add_u32 m0, 0, s48                                       // 000000004264: 807C3080
	buffer_load_dword v30, v28, s[28:31], 0 offen              // 000000004268: E0501000 80071E1C
	s_waitcnt vmcnt(3)                                         // 000000004270: BF8C0F73
	v_mul_f32_dpp v4, v27, v31 row_newbcast:0 row_mask:0xf bank_mask:0xf// 000000004274: 0A083EFA FF01501B
	v_mfma_f32_16x16x32_fp8_fp8 v[8:11], a[32:33], a[8:9], 0   // 00000000427C: D3F30008 1A021120
	buffer_load_dword v24, v22, s[32:35], 0 offen              // 000000004284: E0501000 80081816
	buffer_load_dwordx4 a[16:19], v34, s[24:27], 0 offen       // 00000000428C: E05C1000 80861022
	v_mfma_f32_16x16x32_fp8_fp8 v[8:11], a[34:35], a[10:11], v[8:11]// 000000004294: D3F30008 1C221522
	v_mfma_f32_16x16x32_fp8_fp8 v[8:11], a[36:37], a[12:13], v[8:11]// 00000000429C: D3F30008 1C221924
	ds_read_b128 a[0:3], v2                                    // 0000000042A4: DBFE0000 00000002
	ds_read_b128 a[4:7], v2 offset:64                          // 0000000042AC: DBFE0040 04000002
	s_add_u32 s60, 0x180, s80                                  // 0000000042B4: 803C50FF 00000180
	s_cmp_lt_u32 s60, s81                                      // 0000000042BC: BF0A513C
	s_cselect_b32 s57, s57, 0                                  // 0000000042C0: 85398039
	s_cselect_b32 s3, s3, 0                                    // 0000000042C4: 85038003
	v_mfma_f32_16x16x32_fp8_fp8 v[8:11], a[38:39], a[14:15], v[8:11]// 0000000042C8: D3F30008 1C221D26
	s_add_u32 s60, 0x100, s80                                  // 0000000042D0: 803C50FF 00000100
	s_cmp_lt_u32 s60, s81                                      // 0000000042D8: BF0A513C
	s_cselect_b32 s58, s58, 0                                  // 0000000042DC: 853A803A
	v_mfma_f32_16x16x32_fp8_fp8 v[12:15], a[40:41], a[8:9], 0  // 0000000042E0: D3F3000C 1A021128
	buffer_load_dwordx4 a[20:23], v34, s[24:27], 0 offen offset:1024// 0000000042E8: E05C1400 80861422
	v_mfma_f32_16x16x32_fp8_fp8 v[12:15], a[42:43], a[10:11], v[12:15]// 0000000042F0: D3F3000C 1C32152A
	s_add_u32 s20, s57, s20                                    // 0000000042F8: 80141439
	s_addc_u32 s21, 0, s21                                     // 0000000042FC: 82151580
	s_add_u32 s28, s3, s28                                     // 000000004300: 801C1C03
	s_addc_u32 s29, 0, s29                                     // 000000004304: 821D1D80
	v_mfma_f32_16x16x32_fp8_fp8 v[12:15], a[44:45], a[12:13], v[12:15]// 000000004308: D3F3000C 1C32192C
	s_add_u32 s84, s83, s84                                    // 000000004310: 80545453
	s_addc_u32 s85, 0, s85                                     // 000000004314: 82555580
	v_mfma_f32_16x16x32_fp8_fp8 v[12:15], a[46:47], a[14:15], v[12:15]// 000000004318: D3F3000C 1C321D2E
	v_fma_f32 v44, v8, v4, v44                                 // 000000004320: D1CB002C 04B20908
	v_fma_f32 v45, v9, v4, v45                                 // 000000004328: D1CB002D 04B60909
	v_fma_f32 v46, v10, v4, v46                                // 000000004330: D1CB002E 04BA090A
	v_fma_f32 v47, v11, v4, v47                                // 000000004338: D1CB002F 04BE090B
	v_fma_f32 v48, v12, v4, v48                                // 000000004340: D1CB0030 04C2090C
	v_fma_f32 v49, v13, v4, v49                                // 000000004348: D1CB0031 04C6090D
	v_fma_f32 v50, v14, v4, v50                                // 000000004350: D1CB0032 04CA090E
	v_fma_f32 v51, v15, v4, v51                                // 000000004358: D1CB0033 04CE090F
	buffer_load_dwordx4 a[24:27], v35, s[24:27], 0 offen       // 000000004360: E05C1000 80861823
	buffer_load_dwordx4 a[28:31], v35, s[24:27], 0 offen offset:1024// 000000004368: E05C1400 80861C23
	s_add_u32 s24, s58, s24                                    // 000000004370: 8018183A
	s_addc_u32 s25, 0, s25                                     // 000000004374: 82191980
	s_addk_i32 s80, 0x80                                       // 000000004378: B7500080
	s_cmp_lt_i32 s80, s81                                      // 00000000437C: BF045150
	s_cbranch_scc0 label_0665                                  // 000000004380: BF840001
	s_branch label_0556                                        // 000000004384: BF82FEF1

0000000000004388 <label_0665>:
	s_cmp_eq_u32 s88, 0                                        // 000000004388: BF068058
	s_cbranch_scc0 label_07FF                                  // 00000000438C: BF840198
	s_cmp_eq_u32 s89, 0                                        // 000000004390: BF068059
	s_cbranch_scc1 label_06BE                                  // 000000004394: BF850055
	v_mov_b32_e32 v8, v1                                       // 000000004398: 7E100301
	v_mov_b32_e32 v9, v1                                       // 00000000439C: 7E120301
	s_mov_b32 s60, s6                                          // 0000000043A0: BEBC0006
	s_mov_b32 s61, s6                                          // 0000000043A4: BEBD0006
	v_pk_mul_f32 v[4:5], v[36:37], v[36:37]                    // 0000000043A8: D3B14004 18024924
	v_pk_mul_f32 v[6:7], v[38:39], v[38:39]                    // 0000000043B0: D3B14006 18024D26
	v_pk_fma_f32 v[4:5], v[4:5], s[78:79], v[8:9]              // 0000000043B8: D3B04004 1C209D04
	v_pk_fma_f32 v[6:7], v[6:7], s[78:79], v[8:9]              // 0000000043C0: D3B04006 1C209D06
	v_pk_mul_f32 v[4:5], v[4:5], v[36:37]                      // 0000000043C8: D3B14004 18024904
	v_pk_mul_f32 v[6:7], v[6:7], v[38:39]                      // 0000000043D0: D3B14006 18024D06
	v_pk_mul_f32 v[4:5], v[4:5], s[60:61]                      // 0000000043D8: D3B14004 18007904
	v_pk_mul_f32 v[6:7], v[6:7], s[60:61]                      // 0000000043E0: D3B14006 18007906
	v_exp_f32_e32 v4, v4                                       // 0000000043E8: 7E084104
	v_exp_f32_e32 v5, v5                                       // 0000000043EC: 7E0A4105
	v_exp_f32_e32 v6, v6                                       // 0000000043F0: 7E0C4106
	v_exp_f32_e32 v7, v7                                       // 0000000043F4: 7E0E4107
	v_add_f32_e64 v4, v4, 1.0                                  // 0000000043F8: D1010004 0001E504
	v_add_f32_e64 v5, v5, 1.0                                  // 000000004400: D1010005 0001E505
	v_add_f32_e64 v6, v6, 1.0                                  // 000000004408: D1010006 0001E506
	v_add_f32_e64 v7, v7, 1.0                                  // 000000004410: D1010007 0001E507
	v_rcp_f32_e32 v4, v4                                       // 000000004418: 7E084504
	v_rcp_f32_e32 v5, v5                                       // 00000000441C: 7E0A4505
	v_rcp_f32_e32 v6, v6                                       // 000000004420: 7E0C4506
	v_rcp_f32_e32 v7, v7                                       // 000000004424: 7E0E4507
	v_mul_f32_e32 v36, v36, v4                                 // 000000004428: 0A480924
	v_mul_f32_e32 v37, v37, v5                                 // 00000000442C: 0A4A0B25
	v_mul_f32_e32 v38, v38, v6                                 // 000000004430: 0A4C0D26
	v_mul_f32_e32 v39, v39, v7                                 // 000000004434: 0A4E0F27
	v_mul_f32_e32 v36, v36, v44                                // 000000004438: 0A485924
	v_mul_f32_e32 v37, v37, v45                                // 00000000443C: 0A4A5B25
	v_mul_f32_e32 v38, v38, v46                                // 000000004440: 0A4C5D26
	v_mul_f32_e32 v39, v39, v47                                // 000000004444: 0A4E5F27
	v_pk_mul_f32 v[4:5], v[40:41], v[40:41]                    // 000000004448: D3B14004 18025128
	v_pk_mul_f32 v[6:7], v[42:43], v[42:43]                    // 000000004450: D3B14006 1802552A
	v_pk_fma_f32 v[4:5], v[4:5], s[78:79], v[8:9]              // 000000004458: D3B04004 1C209D04
	v_pk_fma_f32 v[6:7], v[6:7], s[78:79], v[8:9]              // 000000004460: D3B04006 1C209D06
	v_pk_mul_f32 v[4:5], v[4:5], v[40:41]                      // 000000004468: D3B14004 18025104
	v_pk_mul_f32 v[6:7], v[6:7], v[42:43]                      // 000000004470: D3B14006 18025506
	v_pk_mul_f32 v[4:5], v[4:5], s[60:61]                      // 000000004478: D3B14004 18007904
	v_pk_mul_f32 v[6:7], v[6:7], s[60:61]                      // 000000004480: D3B14006 18007906
	v_exp_f32_e32 v4, v4                                       // 000000004488: 7E084104
	v_exp_f32_e32 v5, v5                                       // 00000000448C: 7E0A4105
	v_exp_f32_e32 v6, v6                                       // 000000004490: 7E0C4106
	v_exp_f32_e32 v7, v7                                       // 000000004494: 7E0E4107
	v_add_f32_e64 v4, v4, 1.0                                  // 000000004498: D1010004 0001E504
	v_add_f32_e64 v5, v5, 1.0                                  // 0000000044A0: D1010005 0001E505
	v_add_f32_e64 v6, v6, 1.0                                  // 0000000044A8: D1010006 0001E506
	v_add_f32_e64 v7, v7, 1.0                                  // 0000000044B0: D1010007 0001E507
	v_rcp_f32_e32 v4, v4                                       // 0000000044B8: 7E084504
	v_rcp_f32_e32 v5, v5                                       // 0000000044BC: 7E0A4505
	v_rcp_f32_e32 v6, v6                                       // 0000000044C0: 7E0C4506
	v_rcp_f32_e32 v7, v7                                       // 0000000044C4: 7E0E4507
	v_mul_f32_e32 v40, v40, v4                                 // 0000000044C8: 0A500928
	v_mul_f32_e32 v41, v41, v5                                 // 0000000044CC: 0A520B29
	v_mul_f32_e32 v42, v42, v6                                 // 0000000044D0: 0A540D2A
	v_mul_f32_e32 v43, v43, v7                                 // 0000000044D4: 0A560F2B
	v_mul_f32_e32 v40, v40, v48                                // 0000000044D8: 0A506128
	v_mul_f32_e32 v41, v41, v49                                // 0000000044DC: 0A526329
	v_mul_f32_e32 v42, v42, v50                                // 0000000044E0: 0A54652A
	v_mul_f32_e32 v43, v43, v51                                // 0000000044E4: 0A56672B
	s_branch label_06FE                                        // 0000000044E8: BF820040

00000000000044ec <label_06BE>:
	v_mul_f32_e64 v4, -v36, s6                                 // 0000000044EC: D1050004 20000D24
	v_mul_f32_e64 v5, -v37, s6                                 // 0000000044F4: D1050005 20000D25
	v_mul_f32_e64 v6, -v38, s6                                 // 0000000044FC: D1050006 20000D26
	v_mul_f32_e64 v7, -v39, s6                                 // 000000004504: D1050007 20000D27
	v_exp_f32_e32 v4, v4                                       // 00000000450C: 7E084104
	v_exp_f32_e32 v5, v5                                       // 000000004510: 7E0A4105
	v_exp_f32_e32 v6, v6                                       // 000000004514: 7E0C4106
	v_exp_f32_e32 v7, v7                                       // 000000004518: 7E0E4107
	v_add_f32_e64 v4, v4, 1.0                                  // 00000000451C: D1010004 0001E504
	v_add_f32_e64 v5, v5, 1.0                                  // 000000004524: D1010005 0001E505
	v_add_f32_e64 v6, v6, 1.0                                  // 00000000452C: D1010006 0001E506
	v_add_f32_e64 v7, v7, 1.0                                  // 000000004534: D1010007 0001E507
	v_rcp_f32_e32 v4, v4                                       // 00000000453C: 7E084504
	v_rcp_f32_e32 v5, v5                                       // 000000004540: 7E0A4505
	v_rcp_f32_e32 v6, v6                                       // 000000004544: 7E0C4506
	v_rcp_f32_e32 v7, v7                                       // 000000004548: 7E0E4507
	v_mul_f32_e32 v36, v36, v4                                 // 00000000454C: 0A480924
	v_mul_f32_e32 v37, v37, v5                                 // 000000004550: 0A4A0B25
	v_mul_f32_e32 v38, v38, v6                                 // 000000004554: 0A4C0D26
	v_mul_f32_e32 v39, v39, v7                                 // 000000004558: 0A4E0F27
	v_mul_f32_e32 v36, v36, v44                                // 00000000455C: 0A485924
	v_mul_f32_e32 v37, v37, v45                                // 000000004560: 0A4A5B25
	v_mul_f32_e32 v38, v38, v46                                // 000000004564: 0A4C5D26
	v_mul_f32_e32 v39, v39, v47                                // 000000004568: 0A4E5F27
	v_mul_f32_e64 v4, -v40, s6                                 // 00000000456C: D1050004 20000D28
	v_mul_f32_e64 v5, -v41, s6                                 // 000000004574: D1050005 20000D29
	v_mul_f32_e64 v6, -v42, s6                                 // 00000000457C: D1050006 20000D2A
	v_mul_f32_e64 v7, -v43, s6                                 // 000000004584: D1050007 20000D2B
	v_exp_f32_e32 v4, v4                                       // 00000000458C: 7E084104
	v_exp_f32_e32 v5, v5                                       // 000000004590: 7E0A4105
	v_exp_f32_e32 v6, v6                                       // 000000004594: 7E0C4106
	v_exp_f32_e32 v7, v7                                       // 000000004598: 7E0E4107
	v_add_f32_e64 v4, v4, 1.0                                  // 00000000459C: D1010004 0001E504
	v_add_f32_e64 v5, v5, 1.0                                  // 0000000045A4: D1010005 0001E505
	v_add_f32_e64 v6, v6, 1.0                                  // 0000000045AC: D1010006 0001E506
	v_add_f32_e64 v7, v7, 1.0                                  // 0000000045B4: D1010007 0001E507
	v_rcp_f32_e32 v4, v4                                       // 0000000045BC: 7E084504
	v_rcp_f32_e32 v5, v5                                       // 0000000045C0: 7E0A4505
	v_rcp_f32_e32 v6, v6                                       // 0000000045C4: 7E0C4506
	v_rcp_f32_e32 v7, v7                                       // 0000000045C8: 7E0E4507
	v_mul_f32_e32 v40, v40, v4                                 // 0000000045CC: 0A500928
	v_mul_f32_e32 v41, v41, v5                                 // 0000000045D0: 0A520B29
	v_mul_f32_e32 v42, v42, v6                                 // 0000000045D4: 0A540D2A
	v_mul_f32_e32 v43, v43, v7                                 // 0000000045D8: 0A560F2B
	v_mul_f32_e32 v40, v40, v48                                // 0000000045DC: 0A506128
	v_mul_f32_e32 v41, v41, v49                                // 0000000045E0: 0A526329
	v_mul_f32_e32 v42, v42, v50                                // 0000000045E4: 0A54652A
	v_mul_f32_e32 v43, v43, v51                                // 0000000045E8: 0A56672B

00000000000045ec <label_06FE>:
	s_cmp_eq_u32 s7, 0                                         // 0000000045EC: BF068007
	s_cbranch_scc0 label_0705                                  // 0000000045F0: BF840005
	v_and_b32_e32 v4, 15, v0                                   // 0000000045F4: 2608008F
	v_lshlrev_b32_e32 v4, 2, v4                                // 0000000045F8: 24080882
	buffer_load_dword v28, v4, s[12:15], 0 offen               // 0000000045FC: E0501000 80031C04
	v_add_u32_e32 v4, 64, v4                                   // 000000004604: 680808C0

0000000000004608 <label_0705>:
	v_lshlrev_b32_e32 v4, 2, v0                                // 000000004608: 24080082
	s_mul_i32 s60, 0x100, s7                                   // 00000000460C: 923C07FF 00000100
	v_add_u32_e32 v45, s60, v4                                 // 000000004614: 685A083C
	v_and_b32_e32 v4, 15, v0                                   // 000000004618: 2608008F
	v_lshlrev_b32_e32 v46, 2, v4                               // 00000000461C: 245C0882
	s_waitcnt lgkmcnt(0)                                       // 000000004620: BF8CC07F
	s_barrier                                                  // 000000004624: BF8A0000
	v_mov_b32_e32 v44, 0x358637bd                              // 000000004628: 7E5802FF 358637BD
	v_max3_f32 v44, |v36|, |v37|, v44                          // 000000004630: D1D3032C 04B24B24
	v_max3_f32 v44, |v38|, |v39|, v44                          // 000000004638: D1D3032C 04B24F26
	v_max3_f32 v44, |v40|, |v41|, v44                          // 000000004640: D1D3032C 04B25328
	v_max3_f32 v44, |v42|, |v43|, v44                          // 000000004648: D1D3032C 04B2572A
	ds_write_b32 v45, v44                                      // 000000004650: D81A0000 00002C2D
	s_waitcnt lgkmcnt(0)                                       // 000000004658: BF8CC07F
	s_barrier                                                  // 00000000465C: BF8A0000
	ds_read_b32 v4, v46                                        // 000000004660: D86C0000 0400002E
	ds_read_b32 v5, v46 offset:64                              // 000000004668: D86C0040 0500002E
	ds_read_b32 v6, v46 offset:128                             // 000000004670: D86C0080 0600002E
	ds_read_b32 v7, v46 offset:192                             // 000000004678: D86C00C0 0700002E
	ds_read_b32 v8, v46 offset:256                             // 000000004680: D86C0100 0800002E
	ds_read_b32 v9, v46 offset:320                             // 000000004688: D86C0140 0900002E
	ds_read_b32 v10, v46 offset:384                            // 000000004690: D86C0180 0A00002E
	ds_read_b32 v11, v46 offset:448                            // 000000004698: D86C01C0 0B00002E
	ds_read_b32 v12, v46 offset:512                            // 0000000046A0: D86C0200 0C00002E
	ds_read_b32 v13, v46 offset:576                            // 0000000046A8: D86C0240 0D00002E
	ds_read_b32 v14, v46 offset:640                            // 0000000046B0: D86C0280 0E00002E
	ds_read_b32 v15, v46 offset:704                            // 0000000046B8: D86C02C0 0F00002E
	ds_read_b32 v16, v46 offset:768                            // 0000000046C0: D86C0300 1000002E
	ds_read_b32 v17, v46 offset:832                            // 0000000046C8: D86C0340 1100002E
	ds_read_b32 v18, v46 offset:896                            // 0000000046D0: D86C0380 1200002E
	ds_read_b32 v19, v46 offset:960                            // 0000000046D8: D86C03C0 1300002E
	s_waitcnt lgkmcnt(0)                                       // 0000000046E0: BF8CC07F
	s_barrier                                                  // 0000000046E4: BF8A0000
	v_max3_f32 v44, |v4|, |v5|, v44                            // 0000000046E8: D1D3032C 04B20B04
	v_max3_f32 v44, |v6|, |v7|, v44                            // 0000000046F0: D1D3032C 04B20F06
	v_max3_f32 v44, |v8|, |v9|, v44                            // 0000000046F8: D1D3032C 04B21308
	v_max3_f32 v44, |v10|, |v11|, v44                          // 000000004700: D1D3032C 04B2170A
	v_max3_f32 v44, |v12|, |v13|, v44                          // 000000004708: D1D3032C 04B21B0C
	v_max3_f32 v44, |v14|, |v15|, v44                          // 000000004710: D1D3032C 04B21F0E
	v_max3_f32 v44, |v16|, |v17|, v44                          // 000000004718: D1D3032C 04B22310
	v_max3_f32 v44, |v18|, |v19|, v44                          // 000000004720: D1D3032C 04B22712
	v_rcp_f32_e32 v44, v44                                     // 000000004728: 7E58452C
	v_mov_b32_e32 v4, 0x43700000                               // 00000000472C: 7E0802FF 43700000
	v_mul_f32_e32 v44, v4, v44                                 // 000000004734: 0A585904
	v_mov_b32_e32 v4, v44                                      // 000000004738: 7E08032C
	v_mov_b32_e32 v5, v4                                       // 00000000473C: 7E0A0304
	v_pk_mul_f32 v[36:37], v[4:5], v[36:37]                    // 000000004740: D3B14024 18024904
	v_pk_mul_f32 v[38:39], v[4:5], v[38:39]                    // 000000004748: D3B14026 18024D04
	v_cvt_pk_fp8_f32 v36, v36, v37                             // 000000004750: D2A20024 00024B24
	v_cvt_pk_fp8_f32 v36, v38, v39 op_sel:[0,0,1]              // 000000004758: D2A24024 00024F26
	v_pk_mul_f32 v[40:41], v[4:5], v[40:41]                    // 000000004760: D3B14028 18025104
	v_pk_mul_f32 v[42:43], v[4:5], v[42:43]                    // 000000004768: D3B1402A 18025504
	v_cvt_pk_fp8_f32 v40, v40, v41                             // 000000004770: D2A20028 00025328
	v_cvt_pk_fp8_f32 v40, v42, v43 op_sel:[0,0,1]              // 000000004778: D2A24028 0002572A
	v_rcp_f32_e32 v44, v44                                     // 000000004780: 7E58452C
	v_lshrrev_b32_e32 v4, 5, v0                                // 000000004784: 20080085
	v_mul_lo_u32 v20, 34, v4                                   // 000000004788: D2850014 000208A2
	v_and_b32_e32 v4, 31, v0                                   // 000000004790: 2608009F
	v_lshrrev_b32_e32 v5, 4, v4                                // 000000004794: 200A0884
	v_add_u32_e32 v20, v5, v20                                 // 000000004798: 68282905
	v_and_b32_e32 v4, 15, v0                                   // 00000000479C: 2608008F
	v_mul_lo_u32 v5, 2, v4                                     // 0000000047A0: D2850005 00020882
	v_add_u32_e32 v20, v5, v20                                 // 0000000047A8: 68282905
	s_mul_i32 s60, s7, 0x44                                    // 0000000047AC: 923CFF07 00000044
	v_add_u32_e32 v20, s60, v20                                // 0000000047B4: 6828283C
	v_lshlrev_b32_e32 v20, 2, v20                              // 0000000047B8: 24282882
	ds_write_b32 v20, v36                                      // 0000000047BC: D81A0000 00002414
	ds_write_b32 v20, v40 offset:1088                          // 0000000047C4: D81A0440 00002814
	v_lshrrev_b32_e32 v4, 5, v0                                // 0000000047CC: 20080085
	v_xor_b32_e32 v5, 1, v4                                    // 0000000047D0: 2A0A0881
	s_mul_i32 s60, s65, 1                                      // 0000000047D4: 923C8141
	s_cmp_eq_u32 s88, 0                                        // 0000000047D8: BF068058
	s_cselect_b32 s61, 1, 8                                    // 0000000047DC: 853D8881
	s_mul_i32 s60, s61, s60                                    // 0000000047E0: 923C3C3D
	v_readlane_b32 s82, v3, 0                                  // 0000000047E4: D2890052 00010103
	s_lshr_b32 s61, s82, 24                                    // 0000000047EC: 8F3D9852
	s_and_b32 s82, s82, 0xffffff                               // 0000000047F0: 8652FF52 00FFFFFF
	s_mul_i32 s82, s82, s71                                    // 0000000047F8: 92524752
	s_mul_i32 s61, s60, s61                                    // 0000000047FC: 923D3D3C
	s_add_u32 s82, s82, s61                                    // 000000004800: 80523D52
	v_mul_lo_u32 v6, v5, s82                                   // 000000004804: D2850006 0000A505
	v_readlane_b32 s82, v3, 1                                  // 00000000480C: D2890052 00010303
	s_lshr_b32 s61, s82, 24                                    // 000000004814: 8F3D9852
	s_and_b32 s82, s82, 0xffffff                               // 000000004818: 8652FF52 00FFFFFF
	s_mul_i32 s82, s82, s71                                    // 000000004820: 92524752
	s_mul_i32 s61, s60, s61                                    // 000000004824: 923D3D3C
	s_add_u32 s82, s82, s61                                    // 000000004828: 80523D52
	v_mul_lo_u32 v7, v4, s82                                   // 00000000482C: D2850007 0000A504
	v_add_u32_e32 v32, v6, v7                                  // 000000004834: 68400F06
	v_readlane_b32 s82, v3, 2                                  // 000000004838: D2890052 00010503
	s_lshr_b32 s61, s82, 24                                    // 000000004840: 8F3D9852
	s_and_b32 s82, s82, 0xffffff                               // 000000004844: 8652FF52 00FFFFFF
	s_mul_i32 s82, s82, s71                                    // 00000000484C: 92524752
	s_mul_i32 s61, s60, s61                                    // 000000004850: 923D3D3C
	s_add_u32 s82, s82, s61                                    // 000000004854: 80523D52
	v_mul_lo_u32 v6, v5, s82                                   // 000000004858: D2850006 0000A505
	v_readlane_b32 s82, v3, 3                                  // 000000004860: D2890052 00010703
	s_lshr_b32 s61, s82, 24                                    // 000000004868: 8F3D9852
	s_and_b32 s82, s82, 0xffffff                               // 00000000486C: 8652FF52 00FFFFFF
	s_mul_i32 s82, s82, s71                                    // 000000004874: 92524752
	s_mul_i32 s61, s60, s61                                    // 000000004878: 923D3D3C
	s_add_u32 s82, s82, s61                                    // 00000000487C: 80523D52
	v_mul_lo_u32 v7, v4, s82                                   // 000000004880: D2850007 0000A504
	v_add_u32_e32 v33, v6, v7                                  // 000000004888: 68420F06
	v_and_b32_e32 v4, 31, v0                                   // 00000000488C: 2608009F
	v_lshrrev_b32_e32 v4, 1, v4                                // 000000004890: 20080881
	s_cmp_eq_u32 s88, 0                                        // 000000004894: BF068058
	s_cselect_b32 s61, 2, 4                                    // 000000004898: 853D8482
	v_mul_lo_u32 v4, v4, s61                                   // 00000000489C: D2850004 00007B04
	v_and_b32_e64 v5, v0, 1                                    // 0000000048A4: D1130005 00010300
	v_add_u32_e32 v4, v4, v5                                   // 0000000048AC: 68080B04
	v_lshlrev_b32_e32 v4, 2, v4                                // 0000000048B0: 24080882
	v_add_u32_e32 v32, v32, v4                                 // 0000000048B4: 68400920
	v_add_u32_e32 v33, v33, v4                                 // 0000000048B8: 68420921
	s_waitcnt lgkmcnt(0)                                       // 0000000048BC: BF8CC07F
	s_barrier                                                  // 0000000048C0: BF8A0000
	ds_read_b32 v36, v21                                       // 0000000048C4: D86C0000 24000015
	ds_read_b32 v37, v21 offset:64                             // 0000000048CC: D86C0040 25000015
	s_waitcnt lgkmcnt(0)                                       // 0000000048D4: BF8CC07F
	s_mov_b32 s36, -1                                          // 0000000048D8: BEA400C1
	s_mov_b32 s37, -1                                          // 0000000048DC: BEA500C1
	v_mov_b32_e32 v7, 0                                        // 0000000048E0: 7E0E0280
	s_or_b32 s9, s9, 0x40000                                   // 0000000048E4: 8709FF09 00040000
	s_mov_b64 exec, s[36:37]                                   // 0000000048EC: BEFE0124
	v_mov_b32_e32 v6, v32                                      // 0000000048F0: 7E0C0320
	s_mov_b64 s[60:61], 0                                      // 0000000048F4: BEBC0180
	v_readlane_b32 s82, v3, 0                                  // 0000000048F8: D2890052 00010103
	s_and_b32 s82, s82, 0xffffff                               // 000000004900: 8652FF52 00FFFFFF
	s_cmp_lt_u32 s82, s66                                      // 000000004908: BF0A4252
	s_cselect_b32 s20, s36, s60                                // 00000000490C: 85143C24
	v_readlane_b32 s82, v3, 1                                  // 000000004910: D2890052 00010303
	s_and_b32 s82, s82, 0xffffff                               // 000000004918: 8652FF52 00FFFFFF
	s_cmp_lt_u32 s82, s66                                      // 000000004920: BF0A4252
	s_cselect_b32 s21, s36, s60                                // 000000004924: 85153C24
	s_mov_b64 exec, s[20:21]                                   // 000000004928: BEFE0114
	buffer_store_dword v36, v6, s[8:11], 0 offen               // 00000000492C: E0701000 80022406
	s_mov_b64 exec, s[36:37]                                   // 000000004934: BEFE0124
	v_mov_b32_e32 v6, v33                                      // 000000004938: 7E0C0321
	s_mov_b64 s[60:61], 0                                      // 00000000493C: BEBC0180
	v_readlane_b32 s82, v3, 2                                  // 000000004940: D2890052 00010503
	s_and_b32 s82, s82, 0xffffff                               // 000000004948: 8652FF52 00FFFFFF
	s_cmp_lt_u32 s82, s66                                      // 000000004950: BF0A4252
	s_cselect_b32 s20, s36, s60                                // 000000004954: 85143C24
	v_readlane_b32 s82, v3, 3                                  // 000000004958: D2890052 00010703
	s_and_b32 s82, s82, 0xffffff                               // 000000004960: 8652FF52 00FFFFFF
	s_cmp_lt_u32 s82, s66                                      // 000000004968: BF0A4252
	s_cselect_b32 s21, s36, s60                                // 00000000496C: 85153C24
	s_mov_b64 exec, s[20:21]                                   // 000000004970: BEFE0114
	buffer_store_dword v37, v6, s[8:11], 0 offen               // 000000004974: E0701000 80022506
	s_mov_b64 exec, s[36:37]                                   // 00000000497C: BEFE0124
	s_cmp_eq_u32 s7, 0                                         // 000000004980: BF068007
	s_cbranch_scc0 label_0925                                  // 000000004984: BF840140
	s_waitcnt vmcnt(2)                                         // 000000004988: BF8C0F72
	s_mov_b32 s8, s90                                          // 00000000498C: BE88005A
	s_mov_b32 s9, s91                                          // 000000004990: BE89005B
	s_mul_i32 s60, s66, s71                                    // 000000004994: 923C4742
	s_add_u32 s8, s60, s8                                      // 000000004998: 8008083C
	s_addc_u32 s9, 0, s9                                       // 00000000499C: 82090980
	s_lshr_b32 s71, s71, 5                                     // 0000000049A0: 8F478547
	s_mul_i32 s60, s66, s71                                    // 0000000049A4: 923C4742
	s_mov_b32 s10, s60                                         // 0000000049A8: BE8A003C
	s_lshr_b32 s61, s65, 5                                     // 0000000049AC: 8F3D8541
	s_mul_i32 s60, s2, 4                                       // 0000000049B0: 923C8402
	v_lshrrev_b32_e32 v4, 24, v28                              // 0000000049B4: 20083898
	v_mul_lo_u32 v4, s61, v4                                   // 0000000049B8: D2850004 0002083D
	v_and_b32_e32 v28, 0xffffff, v28                           // 0000000049C0: 263838FF 00FFFFFF
	v_mul_lo_u32 v28, s71, v28                                 // 0000000049C8: D285001C 00023847
	v_add_u32_e32 v28, v4, v28                                 // 0000000049D0: 68383904
	v_add_u32_e32 v28, s60, v28                                // 0000000049D4: 6838383C
	s_mov_b64 exec, 0xffff                                     // 0000000049D8: BEFE01FF 0000FFFF
	buffer_store_dword v44, v28, s[8:11], 0 offen              // 0000000049E0: E0701000 80022C1C
	s_mov_b64 exec, s[36:37]                                   // 0000000049E8: BEFE0124
	s_branch label_0925                                        // 0000000049EC: BF820126

00000000000049f0 <label_07FF>:
	ds_write_b64 v20, v[36:37]                                 // 0000000049F0: D89A0000 00002414
	ds_write_b64 v20, v[40:41] offset:2176                     // 0000000049F8: D89A0880 00002814
	v_lshrrev_b32_e32 v4, 5, v0                                // 000000004A00: 20080085
	v_xor_b32_e32 v5, 1, v4                                    // 000000004A04: 2A0A0881
	s_mul_i32 s60, s65, 1                                      // 000000004A08: 923C8141
	s_cmp_eq_u32 s88, 0                                        // 000000004A0C: BF068058
	s_cselect_b32 s61, 1, 8                                    // 000000004A10: 853D8881
	s_mul_i32 s60, s61, s60                                    // 000000004A14: 923C3C3D
	v_readlane_b32 s82, v3, 0                                  // 000000004A18: D2890052 00010103
	s_lshr_b32 s61, s82, 24                                    // 000000004A20: 8F3D9852
	s_and_b32 s82, s82, 0xffffff                               // 000000004A24: 8652FF52 00FFFFFF
	s_mul_i32 s82, s82, s71                                    // 000000004A2C: 92524752
	s_mul_i32 s61, s60, s61                                    // 000000004A30: 923D3D3C
	s_add_u32 s82, s82, s61                                    // 000000004A34: 80523D52
	v_mul_lo_u32 v6, v5, s82                                   // 000000004A38: D2850006 0000A505
	v_readlane_b32 s82, v3, 1                                  // 000000004A40: D2890052 00010303
	s_lshr_b32 s61, s82, 24                                    // 000000004A48: 8F3D9852
	s_and_b32 s82, s82, 0xffffff                               // 000000004A4C: 8652FF52 00FFFFFF
	s_mul_i32 s82, s82, s71                                    // 000000004A54: 92524752
	s_mul_i32 s61, s60, s61                                    // 000000004A58: 923D3D3C
	s_add_u32 s82, s82, s61                                    // 000000004A5C: 80523D52
	v_mul_lo_u32 v7, v4, s82                                   // 000000004A60: D2850007 0000A504
	v_add_u32_e32 v32, v6, v7                                  // 000000004A68: 68400F06
	v_readlane_b32 s82, v3, 2                                  // 000000004A6C: D2890052 00010503
	s_lshr_b32 s61, s82, 24                                    // 000000004A74: 8F3D9852
	s_and_b32 s82, s82, 0xffffff                               // 000000004A78: 8652FF52 00FFFFFF
	s_mul_i32 s82, s82, s71                                    // 000000004A80: 92524752
	s_mul_i32 s61, s60, s61                                    // 000000004A84: 923D3D3C
	s_add_u32 s82, s82, s61                                    // 000000004A88: 80523D52
	v_mul_lo_u32 v6, v5, s82                                   // 000000004A8C: D2850006 0000A505
	v_readlane_b32 s82, v3, 3                                  // 000000004A94: D2890052 00010703
	s_lshr_b32 s61, s82, 24                                    // 000000004A9C: 8F3D9852
	s_and_b32 s82, s82, 0xffffff                               // 000000004AA0: 8652FF52 00FFFFFF
	s_mul_i32 s82, s82, s71                                    // 000000004AA8: 92524752
	s_mul_i32 s61, s60, s61                                    // 000000004AAC: 923D3D3C
	s_add_u32 s82, s82, s61                                    // 000000004AB0: 80523D52
	v_mul_lo_u32 v7, v4, s82                                   // 000000004AB4: D2850007 0000A504
	v_add_u32_e32 v33, v6, v7                                  // 000000004ABC: 68420F06
	v_and_b32_e32 v4, 31, v0                                   // 000000004AC0: 2608009F
	v_lshrrev_b32_e32 v4, 1, v4                                // 000000004AC4: 20080881
	s_cmp_eq_u32 s88, 0                                        // 000000004AC8: BF068058
	s_cselect_b32 s61, 2, 4                                    // 000000004ACC: 853D8482
	v_mul_lo_u32 v4, v4, s61                                   // 000000004AD0: D2850004 00007B04
	v_and_b32_e64 v5, v0, 1                                    // 000000004AD8: D1130005 00010300
	v_add_u32_e32 v4, v4, v5                                   // 000000004AE0: 68080B04
	v_lshlrev_b32_e32 v4, 2, v4                                // 000000004AE4: 24080882
	v_add_u32_e32 v32, v32, v4                                 // 000000004AE8: 68400920
	v_add_u32_e32 v33, v33, v4                                 // 000000004AEC: 68420921
	s_waitcnt lgkmcnt(0)                                       // 000000004AF0: BF8CC07F
	s_barrier                                                  // 000000004AF4: BF8A0000
	ds_read_b32 v36, v21                                       // 000000004AF8: D86C0000 24000015
	ds_read_b32 v37, v21 offset:64                             // 000000004B00: D86C0040 25000015
	ds_read_b32 v40, v21 offset:2176                           // 000000004B08: D86C0880 28000015
	ds_read_b32 v41, v21 offset:2240                           // 000000004B10: D86C08C0 29000015
	s_waitcnt lgkmcnt(0)                                       // 000000004B18: BF8CC07F
	s_mov_b32 s36, -1                                          // 000000004B1C: BEA400C1
	s_mov_b32 s37, -1                                          // 000000004B20: BEA500C1
	v_mov_b32_e32 v7, 0                                        // 000000004B24: 7E0E0280
	s_mov_b64 exec, s[36:37]                                   // 000000004B28: BEFE0124
	v_mov_b32_e32 v6, v32                                      // 000000004B2C: 7E0C0320
	s_mov_b64 s[60:61], 0                                      // 000000004B30: BEBC0180
	v_readlane_b32 s82, v3, 0                                  // 000000004B34: D2890052 00010103
	s_and_b32 s82, s82, 0xffffff                               // 000000004B3C: 8652FF52 00FFFFFF
	s_cmp_lt_u32 s82, s66                                      // 000000004B44: BF0A4252
	s_cselect_b32 s20, s36, s60                                // 000000004B48: 85143C24
	v_readlane_b32 s82, v3, 1                                  // 000000004B4C: D2890052 00010303
	s_and_b32 s82, s82, 0xffffff                               // 000000004B54: 8652FF52 00FFFFFF
	s_cmp_lt_u32 s82, s66                                      // 000000004B5C: BF0A4252
	s_cselect_b32 s21, s36, s60                                // 000000004B60: 85153C24
	s_mov_b64 exec, s[20:21]                                   // 000000004B64: BEFE0114
	global_atomic_add_f32 v6, v36, s[8:9]                      // 000000004B68: DD348000 00082406
	global_atomic_add_f32 v6, v40, s[8:9] offset:256           // 000000004B70: DD348100 00082806
	s_mov_b64 exec, s[36:37]                                   // 000000004B78: BEFE0124
	v_mov_b32_e32 v6, v33                                      // 000000004B7C: 7E0C0321
	s_mov_b64 s[60:61], 0                                      // 000000004B80: BEBC0180
	v_readlane_b32 s82, v3, 2                                  // 000000004B84: D2890052 00010503
	s_and_b32 s82, s82, 0xffffff                               // 000000004B8C: 8652FF52 00FFFFFF
	s_cmp_lt_u32 s82, s66                                      // 000000004B94: BF0A4252
	s_cselect_b32 s20, s36, s60                                // 000000004B98: 85143C24
	v_readlane_b32 s82, v3, 3                                  // 000000004B9C: D2890052 00010703
	s_and_b32 s82, s82, 0xffffff                               // 000000004BA4: 8652FF52 00FFFFFF
	s_cmp_lt_u32 s82, s66                                      // 000000004BAC: BF0A4252
	s_cselect_b32 s21, s36, s60                                // 000000004BB0: 85153C24
	s_mov_b64 exec, s[20:21]                                   // 000000004BB4: BEFE0114
	global_atomic_add_f32 v6, v37, s[8:9]                      // 000000004BB8: DD348000 00082506
	global_atomic_add_f32 v6, v41, s[8:9] offset:256           // 000000004BC0: DD348100 00082906
	s_mov_b64 exec, s[36:37]                                   // 000000004BC8: BEFE0124
	ds_write_b64 v20, v[38:39]                                 // 000000004BCC: D89A0000 00002614
	ds_write_b64 v20, v[42:43] offset:2176                     // 000000004BD4: D89A0880 00002A14
	s_waitcnt lgkmcnt(0)                                       // 000000004BDC: BF8CC07F
	s_barrier                                                  // 000000004BE0: BF8A0000
	ds_read_b32 v38, v21                                       // 000000004BE4: D86C0000 26000015
	ds_read_b32 v39, v21 offset:64                             // 000000004BEC: D86C0040 27000015
	ds_read_b32 v42, v21 offset:2176                           // 000000004BF4: D86C0880 2A000015
	ds_read_b32 v43, v21 offset:2240                           // 000000004BFC: D86C08C0 2B000015
	s_waitcnt lgkmcnt(0)                                       // 000000004C04: BF8CC07F
	v_mov_b32_e32 v7, 0                                        // 000000004C08: 7E0E0280
	s_mov_b64 exec, s[36:37]                                   // 000000004C0C: BEFE0124
	v_mov_b32_e32 v6, v32                                      // 000000004C10: 7E0C0320
	s_mov_b64 s[60:61], 0                                      // 000000004C14: BEBC0180
	v_readlane_b32 s82, v3, 0                                  // 000000004C18: D2890052 00010103
	s_and_b32 s82, s82, 0xffffff                               // 000000004C20: 8652FF52 00FFFFFF
	s_cmp_lt_u32 s82, s66                                      // 000000004C28: BF0A4252
	s_cselect_b32 s20, s36, s60                                // 000000004C2C: 85143C24
	v_readlane_b32 s82, v3, 1                                  // 000000004C30: D2890052 00010303
	s_and_b32 s82, s82, 0xffffff                               // 000000004C38: 8652FF52 00FFFFFF
	s_cmp_lt_u32 s82, s66                                      // 000000004C40: BF0A4252
	s_cselect_b32 s21, s36, s60                                // 000000004C44: 85153C24
	s_mov_b64 exec, s[20:21]                                   // 000000004C48: BEFE0114
	global_atomic_add_f32 v6, v38, s[8:9] offset:8             // 000000004C4C: DD348008 00082606
	global_atomic_add_f32 v6, v42, s[8:9] offset:264           // 000000004C54: DD348108 00082A06
	s_mov_b64 exec, s[36:37]                                   // 000000004C5C: BEFE0124
	v_mov_b32_e32 v6, v33                                      // 000000004C60: 7E0C0321
	s_mov_b64 s[60:61], 0                                      // 000000004C64: BEBC0180
	v_readlane_b32 s82, v3, 2                                  // 000000004C68: D2890052 00010503
	s_and_b32 s82, s82, 0xffffff                               // 000000004C70: 8652FF52 00FFFFFF
	s_cmp_lt_u32 s82, s66                                      // 000000004C78: BF0A4252
	s_cselect_b32 s20, s36, s60                                // 000000004C7C: 85143C24
	v_readlane_b32 s82, v3, 3                                  // 000000004C80: D2890052 00010703
	s_and_b32 s82, s82, 0xffffff                               // 000000004C88: 8652FF52 00FFFFFF
	s_cmp_lt_u32 s82, s66                                      // 000000004C90: BF0A4252
	s_cselect_b32 s21, s36, s60                                // 000000004C94: 85153C24
	s_mov_b64 exec, s[20:21]                                   // 000000004C98: BEFE0114
	global_atomic_add_f32 v6, v39, s[8:9] offset:8             // 000000004C9C: DD348008 00082706
	global_atomic_add_f32 v6, v43, s[8:9] offset:264           // 000000004CA4: DD348108 00082B06
	s_mov_b64 exec, s[36:37]                                   // 000000004CAC: BEFE0124
	ds_write_b64 v20, v[44:45]                                 // 000000004CB0: D89A0000 00002C14
	ds_write_b64 v20, v[48:49] offset:2176                     // 000000004CB8: D89A0880 00003014
	s_waitcnt lgkmcnt(0)                                       // 000000004CC0: BF8CC07F
	s_barrier                                                  // 000000004CC4: BF8A0000
	ds_read_b32 v44, v21                                       // 000000004CC8: D86C0000 2C000015
	ds_read_b32 v45, v21 offset:64                             // 000000004CD0: D86C0040 2D000015
	ds_read_b32 v48, v21 offset:2176                           // 000000004CD8: D86C0880 30000015
	ds_read_b32 v49, v21 offset:2240                           // 000000004CE0: D86C08C0 31000015
	s_mul_i32 s60, s65, 4                                      // 000000004CE8: 923C8441
	s_add_u32 s8, s60, s8                                      // 000000004CEC: 8008083C
	s_addc_u32 s9, 0, s9                                       // 000000004CF0: 82090980
	s_waitcnt lgkmcnt(0)                                       // 000000004CF4: BF8CC07F
	v_mov_b32_e32 v7, 0                                        // 000000004CF8: 7E0E0280
	s_mov_b64 exec, s[36:37]                                   // 000000004CFC: BEFE0124
	v_mov_b32_e32 v6, v32                                      // 000000004D00: 7E0C0320
	s_mov_b64 s[60:61], 0                                      // 000000004D04: BEBC0180
	v_readlane_b32 s82, v3, 0                                  // 000000004D08: D2890052 00010103
	s_and_b32 s82, s82, 0xffffff                               // 000000004D10: 8652FF52 00FFFFFF
	s_cmp_lt_u32 s82, s66                                      // 000000004D18: BF0A4252
	s_cselect_b32 s20, s36, s60                                // 000000004D1C: 85143C24
	v_readlane_b32 s82, v3, 1                                  // 000000004D20: D2890052 00010303
	s_and_b32 s82, s82, 0xffffff                               // 000000004D28: 8652FF52 00FFFFFF
	s_cmp_lt_u32 s82, s66                                      // 000000004D30: BF0A4252
	s_cselect_b32 s21, s36, s60                                // 000000004D34: 85153C24
	s_mov_b64 exec, s[20:21]                                   // 000000004D38: BEFE0114
	global_atomic_add_f32 v6, v44, s[8:9]                      // 000000004D3C: DD348000 00082C06
	global_atomic_add_f32 v6, v48, s[8:9] offset:256           // 000000004D44: DD348100 00083006
	s_mov_b64 exec, s[36:37]                                   // 000000004D4C: BEFE0124
	v_mov_b32_e32 v6, v33                                      // 000000004D50: 7E0C0321
	s_mov_b64 s[60:61], 0                                      // 000000004D54: BEBC0180
	v_readlane_b32 s82, v3, 2                                  // 000000004D58: D2890052 00010503
	s_and_b32 s82, s82, 0xffffff                               // 000000004D60: 8652FF52 00FFFFFF
	s_cmp_lt_u32 s82, s66                                      // 000000004D68: BF0A4252
	s_cselect_b32 s20, s36, s60                                // 000000004D6C: 85143C24
	v_readlane_b32 s82, v3, 3                                  // 000000004D70: D2890052 00010703
	s_and_b32 s82, s82, 0xffffff                               // 000000004D78: 8652FF52 00FFFFFF
	s_cmp_lt_u32 s82, s66                                      // 000000004D80: BF0A4252
	s_cselect_b32 s21, s36, s60                                // 000000004D84: 85153C24
	s_mov_b64 exec, s[20:21]                                   // 000000004D88: BEFE0114
	global_atomic_add_f32 v6, v45, s[8:9]                      // 000000004D8C: DD348000 00082D06
	global_atomic_add_f32 v6, v49, s[8:9] offset:256           // 000000004D94: DD348100 00083106
	s_mov_b64 exec, s[36:37]                                   // 000000004D9C: BEFE0124
	ds_write_b64 v20, v[46:47]                                 // 000000004DA0: D89A0000 00002E14
	ds_write_b64 v20, v[50:51] offset:2176                     // 000000004DA8: D89A0880 00003214
	s_waitcnt lgkmcnt(0)                                       // 000000004DB0: BF8CC07F
	s_barrier                                                  // 000000004DB4: BF8A0000
	ds_read_b32 v46, v21                                       // 000000004DB8: D86C0000 2E000015
	ds_read_b32 v47, v21 offset:64                             // 000000004DC0: D86C0040 2F000015
	ds_read_b32 v50, v21 offset:2176                           // 000000004DC8: D86C0880 32000015
	ds_read_b32 v51, v21 offset:2240                           // 000000004DD0: D86C08C0 33000015
	s_waitcnt lgkmcnt(0)                                       // 000000004DD8: BF8CC07F
	v_mov_b32_e32 v7, 0                                        // 000000004DDC: 7E0E0280
	s_mov_b64 exec, s[36:37]                                   // 000000004DE0: BEFE0124
	v_mov_b32_e32 v6, v32                                      // 000000004DE4: 7E0C0320
	s_mov_b64 s[60:61], 0                                      // 000000004DE8: BEBC0180
	v_readlane_b32 s82, v3, 0                                  // 000000004DEC: D2890052 00010103
	s_and_b32 s82, s82, 0xffffff                               // 000000004DF4: 8652FF52 00FFFFFF
	s_cmp_lt_u32 s82, s66                                      // 000000004DFC: BF0A4252
	s_cselect_b32 s20, s36, s60                                // 000000004E00: 85143C24
	v_readlane_b32 s82, v3, 1                                  // 000000004E04: D2890052 00010303
	s_and_b32 s82, s82, 0xffffff                               // 000000004E0C: 8652FF52 00FFFFFF
	s_cmp_lt_u32 s82, s66                                      // 000000004E14: BF0A4252
	s_cselect_b32 s21, s36, s60                                // 000000004E18: 85153C24
	s_mov_b64 exec, s[20:21]                                   // 000000004E1C: BEFE0114
	global_atomic_add_f32 v6, v46, s[8:9] offset:8             // 000000004E20: DD348008 00082E06
	global_atomic_add_f32 v6, v50, s[8:9] offset:264           // 000000004E28: DD348108 00083206
	s_mov_b64 exec, s[36:37]                                   // 000000004E30: BEFE0124
	v_mov_b32_e32 v6, v33                                      // 000000004E34: 7E0C0321
	s_mov_b64 s[60:61], 0                                      // 000000004E38: BEBC0180
	v_readlane_b32 s82, v3, 2                                  // 000000004E3C: D2890052 00010503
	s_and_b32 s82, s82, 0xffffff                               // 000000004E44: 8652FF52 00FFFFFF
	s_cmp_lt_u32 s82, s66                                      // 000000004E4C: BF0A4252
	s_cselect_b32 s20, s36, s60                                // 000000004E50: 85143C24
	v_readlane_b32 s82, v3, 3                                  // 000000004E54: D2890052 00010703
	s_and_b32 s82, s82, 0xffffff                               // 000000004E5C: 8652FF52 00FFFFFF
	s_cmp_lt_u32 s82, s66                                      // 000000004E64: BF0A4252
	s_cselect_b32 s21, s36, s60                                // 000000004E68: 85153C24
	s_mov_b64 exec, s[20:21]                                   // 000000004E6C: BEFE0114
	global_atomic_add_f32 v6, v47, s[8:9] offset:8             // 000000004E70: DD348008 00082F06
	global_atomic_add_f32 v6, v51, s[8:9] offset:264           // 000000004E78: DD348108 00083306
	s_mov_b64 exec, s[36:37]                                   // 000000004E80: BEFE0124
	s_branch label_0925                                        // 000000004E84: BF820000

0000000000004e88 <label_0925>:
	s_waitcnt vmcnt(0) expcnt(0) lgkmcnt(0)                    // 000000004E88: BF8C0000
	s_endpgm                                                   // 000000004E8C: BF810000
